;; amdgpu-corpus repo=ROCm/rocFFT kind=compiled arch=gfx950 opt=O3
	.text
	.amdgcn_target "amdgcn-amd-amdhsa--gfx950"
	.amdhsa_code_object_version 6
	.protected	fft_rtc_back_len160_factors_4_10_4_wgs_192_tpt_16_sp_op_CI_CI_sbcc_twdbase8_3step_dirReg ; -- Begin function fft_rtc_back_len160_factors_4_10_4_wgs_192_tpt_16_sp_op_CI_CI_sbcc_twdbase8_3step_dirReg
	.globl	fft_rtc_back_len160_factors_4_10_4_wgs_192_tpt_16_sp_op_CI_CI_sbcc_twdbase8_3step_dirReg
	.p2align	8
	.type	fft_rtc_back_len160_factors_4_10_4_wgs_192_tpt_16_sp_op_CI_CI_sbcc_twdbase8_3step_dirReg,@function
fft_rtc_back_len160_factors_4_10_4_wgs_192_tpt_16_sp_op_CI_CI_sbcc_twdbase8_3step_dirReg: ; @fft_rtc_back_len160_factors_4_10_4_wgs_192_tpt_16_sp_op_CI_CI_sbcc_twdbase8_3step_dirReg
; %bb.0:
	s_load_dwordx4 s[20:23], s[0:1], 0x18
	s_load_dwordx2 s[34:35], s[0:1], 0x28
	s_mov_b32 s3, 0
	s_mov_b64 s[28:29], 0
	s_waitcnt lgkmcnt(0)
	s_load_dwordx2 s[24:25], s[20:21], 0x8
	s_waitcnt lgkmcnt(0)
	s_add_u32 s4, s24, -1
	s_addc_u32 s5, s25, -1
	s_add_u32 s6, 0, 0x55540000
	s_addc_u32 s7, 0, 0x55
	s_mul_hi_u32 s9, s6, -12
	s_add_i32 s7, s7, 0x15555500
	s_sub_i32 s9, s9, s6
	s_mul_i32 s12, s7, -12
	s_mul_i32 s8, s6, -12
	s_add_i32 s9, s9, s12
	s_mul_hi_u32 s10, s7, s8
	s_mul_i32 s11, s7, s8
	s_mul_i32 s13, s6, s9
	s_mul_hi_u32 s8, s6, s8
	s_mul_hi_u32 s12, s6, s9
	s_add_u32 s8, s8, s13
	s_addc_u32 s12, 0, s12
	s_add_u32 s8, s8, s11
	s_mul_hi_u32 s13, s7, s9
	s_addc_u32 s8, s12, s10
	s_addc_u32 s10, s13, 0
	s_mul_i32 s9, s7, s9
	s_add_u32 s8, s8, s9
	v_mov_b32_e32 v1, s8
	s_addc_u32 s9, 0, s10
	v_add_co_u32_e32 v1, vcc, s6, v1
	s_cmp_lg_u64 vcc, 0
	s_addc_u32 s6, s7, s9
	v_readfirstlane_b32 s9, v1
	s_mul_i32 s8, s4, s6
	s_mul_hi_u32 s10, s4, s9
	s_mul_hi_u32 s7, s4, s6
	s_add_u32 s8, s10, s8
	s_addc_u32 s7, 0, s7
	s_mul_hi_u32 s11, s5, s9
	s_mul_i32 s9, s5, s9
	s_add_u32 s8, s8, s9
	s_mul_hi_u32 s10, s5, s6
	s_addc_u32 s7, s7, s11
	s_addc_u32 s8, s10, 0
	s_mul_i32 s6, s5, s6
	s_add_u32 s6, s7, s6
	s_addc_u32 s7, 0, s8
	s_add_u32 s8, s6, 1
	s_addc_u32 s9, s7, 0
	s_add_u32 s10, s6, 2
	s_mul_i32 s12, s7, 12
	s_mul_hi_u32 s13, s6, 12
	s_addc_u32 s11, s7, 0
	s_add_i32 s13, s13, s12
	s_mul_i32 s12, s6, 12
	v_mov_b32_e32 v1, s12
	v_sub_co_u32_e32 v1, vcc, s4, v1
	s_cmp_lg_u64 vcc, 0
	s_subb_u32 s4, s5, s13
	v_subrev_co_u32_e32 v2, vcc, 12, v1
	s_cmp_lg_u64 vcc, 0
	s_subb_u32 s5, s4, 0
	v_readfirstlane_b32 s12, v2
	s_cmp_gt_u32 s12, 11
	s_cselect_b32 s12, -1, 0
	s_cmp_eq_u32 s5, 0
	s_cselect_b32 s5, s12, -1
	s_cmp_lg_u32 s5, 0
	s_cselect_b32 s5, s10, s8
	s_cselect_b32 s8, s11, s9
	v_readfirstlane_b32 s9, v1
	s_cmp_gt_u32 s9, 11
	s_cselect_b32 s9, -1, 0
	s_cmp_eq_u32 s4, 0
	s_cselect_b32 s4, s9, -1
	s_cmp_lg_u32 s4, 0
	s_cselect_b32 s5, s5, s6
	s_cselect_b32 s4, s8, s7
	s_add_u32 s36, s5, 1
	s_addc_u32 s37, s4, 0
	v_mov_b64_e32 v[2:3], s[36:37]
	v_cmp_lt_u64_e32 vcc, s[2:3], v[2:3]
	s_cbranch_vccnz .LBB0_2
; %bb.1:
	v_cvt_f32_u32_e32 v1, s36
	s_sub_i32 s4, 0, s36
	s_mov_b32 s29, s3
	v_rcp_iflag_f32_e32 v1, v1
	s_nop 0
	v_mul_f32_e32 v1, 0x4f7ffffe, v1
	v_cvt_u32_f32_e32 v1, v1
	s_nop 0
	v_readfirstlane_b32 s5, v1
	s_mul_i32 s4, s4, s5
	s_mul_hi_u32 s4, s5, s4
	s_add_i32 s5, s5, s4
	s_mul_hi_u32 s4, s2, s5
	s_mul_i32 s6, s4, s36
	s_sub_i32 s6, s2, s6
	s_add_i32 s5, s4, 1
	s_sub_i32 s7, s6, s36
	s_cmp_ge_u32 s6, s36
	s_cselect_b32 s4, s5, s4
	s_cselect_b32 s6, s7, s6
	s_add_i32 s5, s4, 1
	s_cmp_ge_u32 s6, s36
	s_cselect_b32 s28, s5, s4
.LBB0_2:
	s_load_dwordx4 s[8:11], s[0:1], 0x60
	s_load_dwordx4 s[16:19], s[22:23], 0x0
	;; [unrolled: 1-line block ×3, first 2 shown]
	s_load_dwordx2 s[26:27], s[0:1], 0x0
	s_load_dwordx4 s[12:15], s[0:1], 0x8
	s_mul_i32 s0, s28, s37
	s_mul_hi_u32 s1, s28, s36
	s_add_i32 s1, s1, s0
	s_mul_i32 s0, s28, s36
	s_sub_u32 s0, s2, s0
	s_subb_u32 s1, 0, s1
	s_mul_i32 s1, s1, 12
	s_mul_hi_u32 s30, s0, 12
	s_add_i32 s31, s30, s1
	s_mul_i32 s30, s0, 12
	s_waitcnt lgkmcnt(0)
	s_mul_i32 s0, s18, s31
	s_mul_hi_u32 s1, s18, s30
	s_add_i32 s0, s1, s0
	s_mul_i32 s1, s19, s30
	s_add_i32 s51, s0, s1
	s_mul_i32 s0, s6, s31
	s_mul_hi_u32 s1, s6, s30
	s_add_i32 s0, s1, s0
	s_mul_i32 s1, s7, s30
	s_add_i32 s33, s0, s1
	v_cmp_lt_u64_e64 s[0:1], s[14:15], 3
	s_mul_i32 s52, s18, s30
	s_mul_i32 s50, s6, s30
	s_and_b64 vcc, exec, s[0:1]
	s_cbranch_vccnz .LBB0_12
; %bb.3:
	s_add_u32 s38, s34, 16
	s_addc_u32 s39, s35, 0
	s_add_u32 s40, s22, 16
	s_addc_u32 s41, s23, 0
	;; [unrolled: 2-line block ×3, first 2 shown]
	s_mov_b64 s[42:43], 2
	s_mov_b32 s44, 0
	v_mov_b64_e32 v[2:3], s[14:15]
.LBB0_4:                                ; =>This Inner Loop Header: Depth=1
	s_load_dwordx2 s[46:47], s[20:21], 0x0
	s_waitcnt lgkmcnt(0)
	s_or_b64 s[0:1], s[28:29], s[46:47]
	s_mov_b32 s45, s1
	s_cmp_lg_u64 s[44:45], 0
	s_cbranch_scc0 .LBB0_9
; %bb.5:                                ;   in Loop: Header=BB0_4 Depth=1
	v_cvt_f32_u32_e32 v1, s46
	v_cvt_f32_u32_e32 v4, s47
	s_sub_u32 s0, 0, s46
	s_subb_u32 s1, 0, s47
	v_fmac_f32_e32 v1, 0x4f800000, v4
	v_rcp_f32_e32 v1, v1
	s_nop 0
	v_mul_f32_e32 v1, 0x5f7ffffc, v1
	v_mul_f32_e32 v4, 0x2f800000, v1
	v_trunc_f32_e32 v4, v4
	v_fmac_f32_e32 v1, 0xcf800000, v4
	v_cvt_u32_f32_e32 v4, v4
	v_cvt_u32_f32_e32 v1, v1
	v_readfirstlane_b32 s45, v4
	v_readfirstlane_b32 s48, v1
	s_mul_i32 s49, s0, s45
	s_mul_hi_u32 s54, s0, s48
	s_mul_i32 s53, s1, s48
	s_add_i32 s49, s54, s49
	s_mul_i32 s55, s0, s48
	s_add_i32 s49, s49, s53
	s_mul_hi_u32 s53, s48, s49
	s_mul_i32 s54, s48, s49
	s_mul_hi_u32 s48, s48, s55
	s_add_u32 s48, s48, s54
	s_addc_u32 s53, 0, s53
	s_mul_hi_u32 s56, s45, s55
	s_mul_i32 s55, s45, s55
	s_add_u32 s48, s48, s55
	s_mul_hi_u32 s54, s45, s49
	s_addc_u32 s48, s53, s56
	s_addc_u32 s53, s54, 0
	s_mul_i32 s49, s45, s49
	s_add_u32 s48, s48, s49
	s_addc_u32 s49, 0, s53
	v_add_co_u32_e32 v1, vcc, s48, v1
	s_cmp_lg_u64 vcc, 0
	s_addc_u32 s45, s45, s49
	v_readfirstlane_b32 s49, v1
	s_mul_i32 s48, s0, s45
	s_mul_hi_u32 s53, s0, s49
	s_add_i32 s48, s53, s48
	s_mul_i32 s1, s1, s49
	s_add_i32 s48, s48, s1
	s_mul_i32 s0, s0, s49
	s_mul_hi_u32 s53, s45, s0
	s_mul_i32 s54, s45, s0
	s_mul_i32 s56, s49, s48
	s_mul_hi_u32 s0, s49, s0
	s_mul_hi_u32 s55, s49, s48
	s_add_u32 s0, s0, s56
	s_addc_u32 s49, 0, s55
	s_add_u32 s0, s0, s54
	s_mul_hi_u32 s1, s45, s48
	s_addc_u32 s0, s49, s53
	s_addc_u32 s1, s1, 0
	s_mul_i32 s48, s45, s48
	s_add_u32 s0, s0, s48
	s_addc_u32 s1, 0, s1
	v_add_co_u32_e32 v1, vcc, s0, v1
	s_cmp_lg_u64 vcc, 0
	s_addc_u32 s0, s45, s1
	v_readfirstlane_b32 s48, v1
	s_mul_i32 s45, s28, s0
	s_mul_hi_u32 s49, s28, s48
	s_mul_hi_u32 s1, s28, s0
	s_add_u32 s45, s49, s45
	s_addc_u32 s1, 0, s1
	s_mul_hi_u32 s53, s29, s48
	s_mul_i32 s48, s29, s48
	s_add_u32 s45, s45, s48
	s_mul_hi_u32 s49, s29, s0
	s_addc_u32 s1, s1, s53
	s_addc_u32 s45, s49, 0
	s_mul_i32 s0, s29, s0
	s_add_u32 s48, s1, s0
	s_addc_u32 s45, 0, s45
	s_mul_i32 s0, s46, s45
	s_mul_hi_u32 s1, s46, s48
	s_add_i32 s0, s1, s0
	s_mul_i32 s1, s47, s48
	s_add_i32 s49, s0, s1
	s_mul_i32 s1, s46, s48
	v_mov_b32_e32 v1, s1
	s_sub_i32 s0, s29, s49
	v_sub_co_u32_e32 v1, vcc, s28, v1
	s_cmp_lg_u64 vcc, 0
	s_subb_u32 s53, s0, s47
	v_subrev_co_u32_e64 v4, s[0:1], s46, v1
	s_cmp_lg_u64 s[0:1], 0
	s_subb_u32 s0, s53, 0
	s_cmp_ge_u32 s0, s47
	v_readfirstlane_b32 s53, v4
	s_cselect_b32 s1, -1, 0
	s_cmp_ge_u32 s53, s46
	s_cselect_b32 s53, -1, 0
	s_cmp_eq_u32 s0, s47
	s_cselect_b32 s0, s53, s1
	s_add_u32 s1, s48, 1
	s_addc_u32 s53, s45, 0
	s_add_u32 s54, s48, 2
	s_addc_u32 s55, s45, 0
	s_cmp_lg_u32 s0, 0
	s_cselect_b32 s0, s54, s1
	s_cselect_b32 s1, s55, s53
	s_cmp_lg_u64 vcc, 0
	s_subb_u32 s49, s29, s49
	s_cmp_ge_u32 s49, s47
	v_readfirstlane_b32 s54, v1
	s_cselect_b32 s53, -1, 0
	s_cmp_ge_u32 s54, s46
	s_cselect_b32 s54, -1, 0
	s_cmp_eq_u32 s49, s47
	s_cselect_b32 s49, s54, s53
	s_cmp_lg_u32 s49, 0
	s_cselect_b32 s1, s1, s45
	s_cselect_b32 s0, s0, s48
	s_cbranch_execnz .LBB0_7
.LBB0_6:                                ;   in Loop: Header=BB0_4 Depth=1
	v_cvt_f32_u32_e32 v1, s46
	s_sub_i32 s0, 0, s46
	v_rcp_iflag_f32_e32 v1, v1
	s_nop 0
	v_mul_f32_e32 v1, 0x4f7ffffe, v1
	v_cvt_u32_f32_e32 v1, v1
	s_nop 0
	v_readfirstlane_b32 s1, v1
	s_mul_i32 s0, s0, s1
	s_mul_hi_u32 s0, s1, s0
	s_add_i32 s1, s1, s0
	s_mul_hi_u32 s0, s28, s1
	s_mul_i32 s45, s0, s46
	s_sub_i32 s45, s28, s45
	s_add_i32 s1, s0, 1
	s_sub_i32 s48, s45, s46
	s_cmp_ge_u32 s45, s46
	s_cselect_b32 s0, s1, s0
	s_cselect_b32 s45, s48, s45
	s_add_i32 s1, s0, 1
	s_cmp_ge_u32 s45, s46
	s_cselect_b32 s0, s1, s0
	s_mov_b32 s1, s44
.LBB0_7:                                ;   in Loop: Header=BB0_4 Depth=1
	s_mul_i32 s37, s46, s37
	s_mul_hi_u32 s45, s46, s36
	s_add_i32 s37, s45, s37
	s_mul_i32 s45, s47, s36
	s_add_i32 s37, s37, s45
	s_mul_i32 s45, s0, s47
	s_mul_hi_u32 s47, s0, s46
	s_load_dwordx2 s[48:49], s[40:41], 0x0
	s_add_i32 s45, s47, s45
	s_mul_i32 s47, s1, s46
	s_mul_i32 s36, s46, s36
	s_add_i32 s45, s45, s47
	s_mul_i32 s46, s0, s46
	s_sub_u32 s46, s28, s46
	s_subb_u32 s45, s29, s45
	s_waitcnt lgkmcnt(0)
	s_mul_i32 s28, s48, s45
	s_mul_hi_u32 s29, s48, s46
	s_add_i32 s47, s29, s28
	s_load_dwordx2 s[28:29], s[38:39], 0x0
	s_mul_i32 s49, s49, s46
	s_add_i32 s47, s47, s49
	s_mul_i32 s48, s48, s46
	s_add_u32 s52, s48, s52
	s_addc_u32 s51, s47, s51
	s_waitcnt lgkmcnt(0)
	s_mul_i32 s45, s28, s45
	s_mul_hi_u32 s47, s28, s46
	s_add_i32 s45, s47, s45
	s_mul_i32 s29, s29, s46
	s_add_i32 s45, s45, s29
	s_mul_i32 s28, s28, s46
	s_add_u32 s50, s28, s50
	s_addc_u32 s33, s45, s33
	s_add_u32 s42, s42, 1
	s_addc_u32 s43, s43, 0
	;; [unrolled: 2-line block ×4, first 2 shown]
	s_add_u32 s20, s20, 8
	v_cmp_ge_u64_e32 vcc, s[42:43], v[2:3]
	s_addc_u32 s21, s21, 0
	s_cbranch_vccnz .LBB0_10
; %bb.8:                                ;   in Loop: Header=BB0_4 Depth=1
	s_mov_b64 s[28:29], s[0:1]
	s_branch .LBB0_4
.LBB0_9:                                ;   in Loop: Header=BB0_4 Depth=1
                                        ; implicit-def: $sgpr0_sgpr1
	s_branch .LBB0_6
.LBB0_10:
	v_mov_b64_e32 v[2:3], s[36:37]
	v_cmp_lt_u64_e32 vcc, s[2:3], v[2:3]
	s_mov_b64 s[28:29], 0
	s_cbranch_vccnz .LBB0_12
; %bb.11:
	v_cvt_f32_u32_e32 v1, s36
	s_sub_i32 s0, 0, s36
	v_rcp_iflag_f32_e32 v1, v1
	s_nop 0
	v_mul_f32_e32 v1, 0x4f7ffffe, v1
	v_cvt_u32_f32_e32 v1, v1
	s_nop 0
	v_readfirstlane_b32 s1, v1
	s_mul_i32 s0, s0, s1
	s_mul_hi_u32 s0, s1, s0
	s_add_i32 s1, s1, s0
	s_mul_hi_u32 s0, s2, s1
	s_mul_i32 s3, s0, s36
	s_sub_i32 s2, s2, s3
	s_add_i32 s1, s0, 1
	s_sub_i32 s3, s2, s36
	s_cmp_ge_u32 s2, s36
	s_cselect_b32 s0, s1, s0
	s_cselect_b32 s2, s3, s2
	s_add_i32 s1, s0, 1
	s_cmp_ge_u32 s2, s36
	s_cselect_b32 s28, s1, s0
.LBB0_12:
	s_lshl_b64 s[0:1], s[14:15], 3
	s_add_u32 s2, s22, s0
	s_addc_u32 s3, s23, s1
	s_load_dwordx2 s[2:3], s[2:3], 0x0
	v_mul_u32_u24_e32 v1, 0x1556, v0
	v_lshrrev_b32_e32 v37, 16, v1
	v_mov_b64_e32 v[2:3], s[24:25]
	v_mul_lo_u16_e32 v1, 12, v37
	s_waitcnt lgkmcnt(0)
	s_mul_i32 s3, s3, s28
	s_mul_hi_u32 s14, s2, s28
	s_mul_i32 s2, s2, s28
	s_add_i32 s14, s14, s3
	s_add_u32 s2, s2, s52
	s_addc_u32 s3, s14, s51
	s_add_u32 s0, s34, s0
	s_addc_u32 s1, s35, s1
	s_load_dwordx2 s[14:15], s[0:1], 0x0
	s_add_u32 s0, s30, 12
	s_addc_u32 s1, s31, 0
	v_cmp_le_u64_e64 s[0:1], s[0:1], v[2:3]
	v_sub_u16_e32 v12, v0, v1
	v_mov_b32_e32 v13, 0
	s_and_b64 vcc, exec, s[0:1]
	v_add_u32_e32 v64, 40, v37
	v_add_u32_e32 v1, 16, v37
	s_cbranch_vccz .LBB0_16
; %bb.13:
	v_mad_u64_u32 v[2:3], s[20:21], s18, v12, 0
	v_mov_b32_e32 v4, v3
	v_mad_u64_u32 v[4:5], s[20:21], s19, v12, v[4:5]
	v_mov_b32_e32 v3, v4
	;; [unrolled: 2-line block ×3, first 2 shown]
	v_mad_u64_u32 v[6:7], s[20:21], s17, v37, v[6:7]
	s_lshl_b64 s[20:21], s[2:3], 3
	s_add_u32 s20, s8, s20
	s_addc_u32 s21, s9, s21
	v_mov_b32_e32 v5, v6
	v_lshl_add_u64 v[14:15], v[2:3], 3, s[20:21]
	v_mad_u64_u32 v[2:3], s[20:21], s16, v64, 0
	v_lshl_add_u64 v[10:11], v[4:5], 3, v[14:15]
	v_mov_b32_e32 v4, v3
	v_mad_u64_u32 v[4:5], s[20:21], s17, v64, v[4:5]
	v_mov_b32_e32 v3, v4
	v_add_u32_e32 v5, 0x50, v37
	v_lshl_add_u64 v[16:17], v[2:3], 3, v[14:15]
	v_mad_u64_u32 v[2:3], s[20:21], s16, v5, 0
	v_mov_b32_e32 v4, v3
	v_mad_u64_u32 v[4:5], s[20:21], s17, v5, v[4:5]
	v_mov_b32_e32 v3, v4
	v_add_u32_e32 v5, 0x78, v37
	v_lshl_add_u64 v[18:19], v[2:3], 3, v[14:15]
	v_mad_u64_u32 v[2:3], s[20:21], s16, v5, 0
	v_mov_b32_e32 v4, v3
	v_mad_u64_u32 v[4:5], s[20:21], s17, v5, v[4:5]
	v_mov_b32_e32 v3, v4
	v_add_u32_e32 v65, 16, v37
	v_lshl_add_u64 v[20:21], v[2:3], 3, v[14:15]
	global_load_dwordx2 v[6:7], v[10:11], off
	global_load_dwordx2 v[2:3], v[16:17], off
	;; [unrolled: 1-line block ×4, first 2 shown]
	v_mad_u64_u32 v[10:11], s[20:21], s16, v65, 0
	v_mov_b32_e32 v16, v11
	v_mad_u64_u32 v[16:17], s[20:21], s17, v65, v[16:17]
	v_mov_b32_e32 v11, v16
	v_add_u32_e32 v19, 56, v37
	v_lshl_add_u64 v[16:17], v[10:11], 3, v[14:15]
	v_mad_u64_u32 v[10:11], s[20:21], s16, v19, 0
	v_mov_b32_e32 v18, v11
	v_mad_u64_u32 v[18:19], s[20:21], s17, v19, v[18:19]
	v_mov_b32_e32 v11, v18
	v_or_b32_e32 v21, 0x60, v37
	v_lshl_add_u64 v[18:19], v[10:11], 3, v[14:15]
	v_mad_u64_u32 v[10:11], s[20:21], s16, v21, 0
	v_mov_b32_e32 v20, v11
	v_mad_u64_u32 v[20:21], s[20:21], s17, v21, v[20:21]
	v_mov_b32_e32 v11, v20
	v_add_u32_e32 v21, 0x88, v37
	v_lshl_add_u64 v[26:27], v[10:11], 3, v[14:15]
	v_mad_u64_u32 v[10:11], s[20:21], s16, v21, 0
	v_mov_b32_e32 v20, v11
	v_mad_u64_u32 v[20:21], s[20:21], s17, v21, v[20:21]
	v_mov_b32_e32 v11, v20
	v_lshl_add_u64 v[28:29], v[10:11], 3, v[14:15]
	global_load_dwordx2 v[22:23], v[16:17], off
	global_load_dwordx2 v[10:11], v[18:19], off
	;; [unrolled: 1-line block ×4, first 2 shown]
	s_movk_i32 s20, 0x60
	v_cmp_gt_u32_e32 vcc, s20, v0
                                        ; implicit-def: $vgpr17
                                        ; implicit-def: $vgpr19
                                        ; implicit-def: $vgpr27
                                        ; implicit-def: $vgpr29
	s_and_saveexec_b64 s[20:21], vcc
	s_cbranch_execz .LBB0_15
; %bb.14:
	v_or_b32_e32 v19, 32, v37
	v_mad_u64_u32 v[16:17], s[22:23], s16, v19, 0
	v_mov_b32_e32 v18, v17
	v_mad_u64_u32 v[18:19], s[22:23], s17, v19, v[18:19]
	v_mov_b32_e32 v17, v18
	v_add_u32_e32 v19, 0x48, v37
	v_lshl_add_u64 v[30:31], v[16:17], 3, v[14:15]
	v_mad_u64_u32 v[16:17], s[22:23], s16, v19, 0
	v_mov_b32_e32 v18, v17
	v_mad_u64_u32 v[18:19], s[22:23], s17, v19, v[18:19]
	v_mov_b32_e32 v17, v18
	v_or_b32_e32 v19, 0x70, v37
	v_lshl_add_u64 v[32:33], v[16:17], 3, v[14:15]
	v_mad_u64_u32 v[16:17], s[22:23], s16, v19, 0
	v_mov_b32_e32 v18, v17
	v_mad_u64_u32 v[18:19], s[22:23], s17, v19, v[18:19]
	v_mov_b32_e32 v17, v18
	v_add_u32_e32 v19, 0x98, v37
	v_lshl_add_u64 v[34:35], v[16:17], 3, v[14:15]
	v_mad_u64_u32 v[16:17], s[22:23], s16, v19, 0
	v_mov_b32_e32 v18, v17
	v_mad_u64_u32 v[18:19], s[22:23], s17, v19, v[18:19]
	v_mov_b32_e32 v17, v18
	v_lshl_add_u64 v[14:15], v[16:17], 3, v[14:15]
	global_load_dwordx2 v[28:29], v[30:31], off
	global_load_dwordx2 v[26:27], v[32:33], off
	;; [unrolled: 1-line block ×4, first 2 shown]
.LBB0_15:
	s_or_b64 exec, exec, s[20:21]
	v_lshl_add_u64 v[14:15], s[30:31], 0, v[12:13]
	s_cbranch_execz .LBB0_17
	s_branch .LBB0_24
.LBB0_16:
                                        ; implicit-def: $vgpr17
                                        ; implicit-def: $vgpr19
                                        ; implicit-def: $vgpr27
                                        ; implicit-def: $vgpr29
                                        ; implicit-def: $vgpr5
                                        ; implicit-def: $vgpr3
                                        ; implicit-def: $vgpr9
                                        ; implicit-def: $vgpr7
                                        ; implicit-def: $vgpr21
                                        ; implicit-def: $vgpr11
                                        ; implicit-def: $vgpr25
                                        ; implicit-def: $vgpr23
                                        ; implicit-def: $vgpr65
	v_lshl_add_u64 v[14:15], s[30:31], 0, v[12:13]
.LBB0_17:
	v_cmp_le_u64_e32 vcc, s[24:25], v[14:15]
                                        ; implicit-def: $vgpr65
	s_and_saveexec_b64 s[20:21], vcc
	s_xor_b64 s[20:21], exec, s[20:21]
; %bb.18:
	v_add_u32_e32 v65, 16, v37
                                        ; implicit-def: $vgpr1
; %bb.19:
	s_or_saveexec_b64 s[20:21], s[20:21]
                                        ; implicit-def: $vgpr17
                                        ; implicit-def: $vgpr19
                                        ; implicit-def: $vgpr27
                                        ; implicit-def: $vgpr29
                                        ; implicit-def: $vgpr5
                                        ; implicit-def: $vgpr3
                                        ; implicit-def: $vgpr9
                                        ; implicit-def: $vgpr7
                                        ; implicit-def: $vgpr21
                                        ; implicit-def: $vgpr11
                                        ; implicit-def: $vgpr25
                                        ; implicit-def: $vgpr23
	s_xor_b64 exec, exec, s[20:21]
	s_cbranch_execz .LBB0_23
; %bb.20:
	s_waitcnt vmcnt(6)
	v_mad_u64_u32 v[2:3], s[22:23], s18, v12, 0
	s_waitcnt vmcnt(4)
	v_mov_b32_e32 v4, v3
	v_mad_u64_u32 v[4:5], s[18:19], s19, v12, v[4:5]
	v_mov_b32_e32 v3, v4
	v_mad_u64_u32 v[4:5], s[18:19], s16, v37, 0
	s_lshl_b64 s[2:3], s[2:3], 3
	v_mov_b32_e32 v6, v5
	s_add_u32 s2, s8, s2
	v_mad_u64_u32 v[6:7], s[18:19], s17, v37, v[6:7]
	s_addc_u32 s3, s9, s3
	v_mov_b32_e32 v5, v6
	v_lshl_add_u64 v[30:31], v[2:3], 3, s[2:3]
	v_mad_u64_u32 v[2:3], s[2:3], s16, v64, 0
	s_waitcnt vmcnt(2)
	v_lshl_add_u64 v[10:11], v[4:5], 3, v[30:31]
	v_mov_b32_e32 v4, v3
	v_mad_u64_u32 v[4:5], s[2:3], s17, v64, v[4:5]
	v_mov_b32_e32 v3, v4
	v_add_u32_e32 v5, 0x50, v37
	s_waitcnt vmcnt(0)
	v_lshl_add_u64 v[16:17], v[2:3], 3, v[30:31]
	v_mad_u64_u32 v[2:3], s[2:3], s16, v5, 0
	v_mov_b32_e32 v4, v3
	v_mad_u64_u32 v[4:5], s[2:3], s17, v5, v[4:5]
	v_mov_b32_e32 v3, v4
	v_add_u32_e32 v5, 0x78, v37
	v_lshl_add_u64 v[18:19], v[2:3], 3, v[30:31]
	v_mad_u64_u32 v[2:3], s[2:3], s16, v5, 0
	v_mov_b32_e32 v4, v3
	v_mad_u64_u32 v[4:5], s[2:3], s17, v5, v[4:5]
	v_mov_b32_e32 v3, v4
	v_lshl_add_u64 v[20:21], v[2:3], 3, v[30:31]
	global_load_dwordx2 v[6:7], v[10:11], off
	global_load_dwordx2 v[2:3], v[16:17], off
	;; [unrolled: 1-line block ×4, first 2 shown]
	v_mad_u64_u32 v[10:11], s[2:3], s16, v1, 0
	v_mov_b32_e32 v16, v11
	v_mad_u64_u32 v[16:17], s[2:3], s17, v1, v[16:17]
	v_mov_b32_e32 v11, v16
	v_add_u32_e32 v13, 56, v37
	v_lshl_add_u64 v[16:17], v[10:11], 3, v[30:31]
	v_mad_u64_u32 v[10:11], s[2:3], s16, v13, 0
	v_mov_b32_e32 v18, v11
	v_mad_u64_u32 v[18:19], s[2:3], s17, v13, v[18:19]
	v_mov_b32_e32 v11, v18
	v_or_b32_e32 v13, 0x60, v37
	v_lshl_add_u64 v[18:19], v[10:11], 3, v[30:31]
	v_mad_u64_u32 v[10:11], s[2:3], s16, v13, 0
	v_mov_b32_e32 v20, v11
	v_mad_u64_u32 v[20:21], s[2:3], s17, v13, v[20:21]
	v_mov_b32_e32 v11, v20
	v_add_u32_e32 v13, 0x88, v37
	v_lshl_add_u64 v[26:27], v[10:11], 3, v[30:31]
	v_mad_u64_u32 v[10:11], s[2:3], s16, v13, 0
	v_mov_b32_e32 v20, v11
	v_mad_u64_u32 v[20:21], s[2:3], s17, v13, v[20:21]
	v_mov_b32_e32 v11, v20
	v_lshl_add_u64 v[28:29], v[10:11], 3, v[30:31]
	global_load_dwordx2 v[22:23], v[16:17], off
	global_load_dwordx2 v[10:11], v[18:19], off
	;; [unrolled: 1-line block ×4, first 2 shown]
	s_movk_i32 s2, 0x60
	v_cmp_gt_u32_e32 vcc, s2, v0
                                        ; implicit-def: $vgpr17
                                        ; implicit-def: $vgpr19
                                        ; implicit-def: $vgpr27
                                        ; implicit-def: $vgpr29
	s_and_saveexec_b64 s[2:3], vcc
	s_cbranch_execz .LBB0_22
; %bb.21:
	v_or_b32_e32 v13, 32, v37
	v_mad_u64_u32 v[16:17], s[8:9], s16, v13, 0
	v_mov_b32_e32 v18, v17
	v_mad_u64_u32 v[18:19], s[8:9], s17, v13, v[18:19]
	v_mov_b32_e32 v17, v18
	v_add_u32_e32 v13, 0x48, v37
	v_lshl_add_u64 v[32:33], v[16:17], 3, v[30:31]
	v_mad_u64_u32 v[16:17], s[8:9], s16, v13, 0
	v_mov_b32_e32 v18, v17
	v_mad_u64_u32 v[18:19], s[8:9], s17, v13, v[18:19]
	v_mov_b32_e32 v17, v18
	v_or_b32_e32 v13, 0x70, v37
	v_lshl_add_u64 v[34:35], v[16:17], 3, v[30:31]
	v_mad_u64_u32 v[16:17], s[8:9], s16, v13, 0
	v_mov_b32_e32 v18, v17
	v_mad_u64_u32 v[18:19], s[8:9], s17, v13, v[18:19]
	v_mov_b32_e32 v17, v18
	v_add_u32_e32 v13, 0x98, v37
	v_lshl_add_u64 v[38:39], v[16:17], 3, v[30:31]
	v_mad_u64_u32 v[16:17], s[8:9], s16, v13, 0
	v_mov_b32_e32 v18, v17
	v_mad_u64_u32 v[18:19], s[8:9], s17, v13, v[18:19]
	v_mov_b32_e32 v17, v18
	v_lshl_add_u64 v[30:31], v[16:17], 3, v[30:31]
	global_load_dwordx2 v[28:29], v[32:33], off
	global_load_dwordx2 v[26:27], v[34:35], off
	;; [unrolled: 1-line block ×4, first 2 shown]
.LBB0_22:
	s_or_b64 exec, exec, s[2:3]
	v_mov_b32_e32 v65, v1
.LBB0_23:
	s_or_b64 exec, exec, s[20:21]
.LBB0_24:
	s_waitcnt vmcnt(1)
	v_pk_add_f32 v[30:31], v[28:29], v[18:19] neg_lo:[0,1] neg_hi:[0,1]
	v_add_f32_e32 v33, v29, v29
	v_mov_b32_e32 v32, v28
	s_waitcnt vmcnt(0)
	v_pk_add_f32 v[34:35], v[26:27], v[16:17] neg_lo:[0,1] neg_hi:[0,1]
	v_mov_b32_e32 v19, v31
	v_pk_add_f32 v[32:33], v[32:33], v[18:19] neg_lo:[0,1] neg_hi:[0,1]
	v_fma_f32 v19, v27, 2.0, -v35
	v_mov_b32_e32 v18, v35
	v_fma_f32 v26, v26, 2.0, -v34
	v_fma_f32 v30, v28, 2.0, -v32
	v_pk_add_f32 v[16:17], v[32:33], v[18:19]
	v_pk_add_f32 v[18:19], v[32:33], v[18:19] neg_lo:[0,1] neg_hi:[0,1]
	v_mov_b32_e32 v27, v34
	v_pk_add_f32 v[8:9], v[6:7], v[8:9] neg_lo:[0,1] neg_hi:[0,1]
	v_pk_add_f32 v[4:5], v[2:3], v[4:5] neg_lo:[0,1] neg_hi:[0,1]
	v_mov_b32_e32 v17, v19
	v_pk_add_f32 v[18:19], v[30:31], v[26:27] neg_lo:[0,1] neg_hi:[0,1]
	v_mul_u32_u24_e32 v1, 48, v37
	v_pk_fma_f32 v[6:7], v[6:7], 2.0, v[8:9] op_sel_hi:[1,0,1] neg_lo:[0,0,1] neg_hi:[0,0,1]
	v_pk_fma_f32 v[2:3], v[2:3], 2.0, v[4:5] op_sel_hi:[1,0,1] neg_lo:[0,0,1] neg_hi:[0,0,1]
	v_pk_add_f32 v[26:27], v[8:9], v[4:5] op_sel:[0,1] op_sel_hi:[1,0]
	v_pk_add_f32 v[4:5], v[8:9], v[4:5] op_sel:[0,1] op_sel_hi:[1,0] neg_lo:[0,1] neg_hi:[0,1]
	v_lshl_add_u32 v13, v1, 3, 0
	v_lshlrev_b32_e32 v1, 3, v12
	v_pk_add_f32 v[2:3], v[6:7], v[2:3] neg_lo:[0,1] neg_hi:[0,1]
	v_mov_b32_e32 v27, v5
	v_add_u32_e32 v28, v13, v1
	v_pk_fma_f32 v[6:7], v[6:7], 2.0, v[2:3] op_sel_hi:[1,0,1] neg_lo:[0,0,1] neg_hi:[0,0,1]
	v_pk_fma_f32 v[4:5], v[8:9], 2.0, v[26:27] op_sel_hi:[1,0,1] neg_lo:[0,0,1] neg_hi:[0,0,1]
	ds_write2_b64 v28, v[6:7], v[4:5] offset1:12
	ds_write2_b64 v28, v[2:3], v[26:27] offset0:24 offset1:36
	s_movk_i32 s2, 0x180
	v_pk_add_f32 v[4:5], v[22:23], v[24:25] neg_lo:[0,1] neg_hi:[0,1]
	v_pk_add_f32 v[8:9], v[10:11], v[20:21] neg_lo:[0,1] neg_hi:[0,1]
	v_mul_lo_u32 v2, v65, s2
	v_pk_fma_f32 v[6:7], v[22:23], 2.0, v[4:5] op_sel_hi:[1,0,1] neg_lo:[0,0,1] neg_hi:[0,0,1]
	v_pk_fma_f32 v[10:11], v[10:11], 2.0, v[8:9] op_sel_hi:[1,0,1] neg_lo:[0,0,1] neg_hi:[0,0,1]
	v_pk_add_f32 v[20:21], v[4:5], v[8:9] op_sel:[0,1] op_sel_hi:[1,0]
	v_pk_add_f32 v[8:9], v[4:5], v[8:9] op_sel:[0,1] op_sel_hi:[1,0] neg_lo:[0,1] neg_hi:[0,1]
	s_movk_i32 s2, 0x5f
	v_add_u32_e32 v2, 0, v2
	v_pk_add_f32 v[10:11], v[6:7], v[10:11] neg_lo:[0,1] neg_hi:[0,1]
	v_mov_b32_e32 v21, v9
	v_cmp_lt_u32_e32 vcc, s2, v0
	s_movk_i32 s2, 0x60
	v_add_u32_e32 v3, v2, v1
	v_pk_fma_f32 v[6:7], v[6:7], 2.0, v[10:11] op_sel_hi:[1,0,1] neg_lo:[0,0,1] neg_hi:[0,0,1]
	v_pk_fma_f32 v[4:5], v[4:5], 2.0, v[20:21] op_sel_hi:[1,0,1] neg_lo:[0,0,1] neg_hi:[0,0,1]
	v_cmp_gt_u32_e64 s[2:3], s2, v0
	ds_write2_b64 v3, v[6:7], v[4:5] offset1:12
	ds_write2_b64 v3, v[10:11], v[20:21] offset0:24 offset1:36
	s_and_saveexec_b64 s[8:9], s[2:3]
	s_cbranch_execz .LBB0_26
; %bb.25:
	v_lshl_add_u32 v0, v12, 3, v13
	v_mov_b32_e32 v4, v30
	v_mov_b32_e32 v5, v33
	;; [unrolled: 1-line block ×7, first 2 shown]
	v_pk_fma_f32 v[4:5], v[4:5], 2.0, v[6:7] op_sel_hi:[1,0,1] neg_lo:[0,0,1] neg_hi:[0,0,1]
	v_pk_fma_f32 v[10:11], v[32:33], 2.0, v[8:9] op_sel_hi:[1,0,1] neg_lo:[0,0,1] neg_hi:[0,0,1]
	v_add_u32_e32 v0, 0x3000, v0
	ds_write2_b64 v0, v[4:5], v[10:11] offset1:12
	ds_write2_b64 v0, v[6:7], v[8:9] offset0:24 offset1:36
.LBB0_26:
	s_or_b64 exec, exec, s[8:9]
	v_and_b32_e32 v0, 3, v37
	v_mul_u32_u24_e32 v3, 9, v0
	v_lshlrev_b32_e32 v3, 3, v3
	s_waitcnt lgkmcnt(0)
	s_barrier
	global_load_dwordx4 v[4:7], v3, s[26:27] offset:48
	global_load_dwordx4 v[8:11], v3, s[26:27] offset:16
	global_load_dwordx2 v[46:47], v3, s[26:27] offset:64
	global_load_dwordx4 v[20:23], v3, s[26:27]
	global_load_dwordx4 v[24:27], v3, s[26:27] offset:32
	s_movk_i32 s8, 0xfee0
	v_mul_i32_i24_e32 v3, 0xfffffee0, v37
	v_add3_u32 v13, v13, v3, v1
	v_mul_lo_u32 v3, v65, s8
	v_lshrrev_b32_e32 v28, 2, v37
	v_add3_u32 v67, v2, v3, v1
	v_mul_u32_u24_e32 v36, 40, v28
	ds_read2st64_b64 v[28:31], v13 offset1:6
	ds_read2st64_b64 v[32:35], v13 offset0:9 offset1:12
	ds_read2st64_b64 v[38:41], v13 offset0:15 offset1:18
	;; [unrolled: 1-line block ×3, first 2 shown]
	ds_read_b64 v[2:3], v13 offset:13824
	ds_read_b64 v[48:49], v67
	v_or_b32_e32 v0, v36, v0
	v_mul_u32_u24_e32 v0, 0x60, v0
	v_add3_u32 v70, 0, v0, v1
	s_waitcnt lgkmcnt(2)
	v_mov_b32_e32 v0, v43
	s_waitcnt lgkmcnt(1)
	v_mov_b32_e32 v36, v3
	s_mov_b32 s8, 0x3e9e377a
	s_mov_b32 s9, 0x3f167918
	;; [unrolled: 1-line block ×11, first 2 shown]
	s_waitcnt lgkmcnt(0)
	s_barrier
	s_waitcnt vmcnt(4)
	v_pk_mul_f32 v[50:51], v[42:43], v[4:5]
	s_waitcnt vmcnt(3)
	v_pk_mul_f32 v[54:55], v[8:9], v[32:33] op_sel:[0,1]
	v_pk_mul_f32 v[56:57], v[10:11], v[34:35] op_sel:[0,1]
	v_pk_fma_f32 v[68:69], v[8:9], v[32:33], v[54:55] op_sel:[0,0,1] op_sel_hi:[1,0,0]
	v_pk_fma_f32 v[8:9], v[8:9], v[32:33], v[54:55] op_sel:[0,0,1] op_sel_hi:[1,0,0] neg_lo:[1,0,0] neg_hi:[1,0,0]
	v_mov_b32_e32 v52, v5
	s_waitcnt vmcnt(2)
	v_pk_mul_f32 v[58:59], v[2:3], v[46:47]
	s_waitcnt vmcnt(1)
	v_pk_mul_f32 v[60:61], v[20:21], v[48:49] op_sel:[0,1]
	v_pk_mul_f32 v[62:63], v[22:23], v[30:31] op_sel:[0,1]
	v_pk_fma_f32 v[32:33], v[10:11], v[34:35], v[56:57] op_sel:[0,0,1] op_sel_hi:[1,1,0]
	v_pk_fma_f32 v[10:11], v[10:11], v[34:35], v[56:57] op_sel:[0,0,1] op_sel_hi:[1,0,0] neg_lo:[1,0,0] neg_hi:[1,0,0]
	s_waitcnt vmcnt(0)
	v_pk_mul_f32 v[34:35], v[24:25], v[38:39] op_sel:[0,1]
	v_mov_b32_e32 v8, v27
	v_mov_b32_e32 v10, v7
	v_pk_fma_f32 v[54:55], v[20:21], v[48:49], v[60:61] op_sel:[0,0,1] op_sel_hi:[1,0,0]
	v_pk_fma_f32 v[20:21], v[20:21], v[48:49], v[60:61] op_sel:[0,0,1] op_sel_hi:[1,0,0] neg_lo:[1,0,0] neg_hi:[1,0,0]
	v_pk_fma_f32 v[48:49], v[22:23], v[30:31], v[62:63] op_sel:[0,0,1] op_sel_hi:[1,1,0]
	v_pk_fma_f32 v[22:23], v[22:23], v[30:31], v[62:63] op_sel:[0,0,1] op_sel_hi:[1,0,0] neg_lo:[1,0,0] neg_hi:[1,0,0]
	v_mov_b32_e32 v30, v58
	v_mov_b32_e32 v31, v50
	;; [unrolled: 1-line block ×3, first 2 shown]
	v_pk_mul_f32 v[42:43], v[42:43], v[52:53]
	v_pk_fma_f32 v[52:53], v[24:25], v[38:39], v[34:35] op_sel:[0,0,1] op_sel_hi:[1,0,0]
	v_pk_fma_f32 v[24:25], v[24:25], v[38:39], v[34:35] op_sel:[0,0,1] op_sel_hi:[1,0,0] neg_lo:[1,0,0] neg_hi:[1,0,0]
	v_pk_mul_f32 v[34:35], v[40:41], v[8:9] op_sel_hi:[1,0]
	v_mov_b32_e32 v66, v47
	v_pk_mul_f32 v[38:39], v[44:45], v[10:11] op_sel_hi:[1,0]
	v_pk_fma_f32 v[0:1], v[0:1], v[4:5], v[42:43] neg_lo:[0,0,1] neg_hi:[0,0,1]
	v_pk_add_f32 v[4:5], v[30:31], v[50:51]
	v_mov_b32_e32 v33, v11
	v_pk_fma_f32 v[10:11], v[40:41], v[26:27], v[34:35] op_sel:[0,0,1] op_sel_hi:[1,1,0]
	v_pk_fma_f32 v[26:27], v[40:41], v[26:27], v[34:35] op_sel:[0,0,1] op_sel_hi:[1,0,0] neg_lo:[0,0,1] neg_hi:[0,0,1]
	v_pk_mul_f32 v[2:3], v[2:3], v[66:67]
	v_pk_fma_f32 v[30:31], v[44:45], v[6:7], v[38:39] op_sel:[0,0,1] op_sel_hi:[1,1,0]
	v_pk_fma_f32 v[6:7], v[44:45], v[6:7], v[38:39] op_sel:[0,0,1] op_sel_hi:[1,0,0] neg_lo:[0,0,1] neg_hi:[0,0,1]
	v_mov_b32_e32 v26, v68
	v_mov_b32_e32 v34, v52
	;; [unrolled: 1-line block ×5, first 2 shown]
	v_pk_fma_f32 v[2:3], v[36:37], v[46:47], v[2:3] neg_lo:[0,0,1] neg_hi:[0,0,1]
	v_mov_b32_e32 v6, v9
	v_pk_add_f32 v[46:47], v[26:27], v[34:35] neg_lo:[0,1] neg_hi:[0,1]
	v_mov_b32_e32 v8, v25
	v_pk_add_f32 v[40:41], v[6:7], v[2:3] neg_lo:[0,1] neg_hi:[0,1]
	v_mov_b32_e32 v6, v47
	v_add_f32_e32 v22, v52, v5
	v_pk_add_f32 v[42:43], v[8:9], v[0:1] neg_lo:[0,1] neg_hi:[0,1]
	v_pk_add_f32 v[46:47], v[46:47], v[6:7]
	v_fma_f32 v1, -0.5, v22, v54
	v_mov_b32_e32 v47, v42
	v_fmamk_f32 v3, v40, 0xbf737871, v1
	v_pk_mul_f32 v[46:47], v[46:47], s[8:9]
	v_fmac_f32_e32 v1, 0x3f737871, v40
	v_pk_add_f32 v[26:27], v[34:35], v[26:27] neg_lo:[0,1] neg_hi:[0,1]
	v_sub_f32_e32 v3, v3, v47
	v_add_f32_e32 v1, v47, v1
	v_mov_b32_e32 v22, v27
	v_add_f32_e32 v6, v46, v3
	v_add_f32_e32 v8, v46, v1
	;; [unrolled: 1-line block ×3, first 2 shown]
	v_mov_b32_e32 v3, v54
	v_pk_add_f32 v[26:27], v[26:27], v[22:23]
	v_fmac_f32_e32 v3, -0.5, v1
	v_mov_b32_e32 v27, v40
	v_fmamk_f32 v1, v42, 0x3f737871, v3
	v_pk_mul_f32 v[26:27], v[26:27], s[8:9]
	v_fmac_f32_e32 v3, 0xbf737871, v42
	v_sub_f32_e32 v1, v1, v27
	v_mov_b32_e32 v55, v21
	v_mov_b32_e32 v69, v9
	v_add_f32_e32 v22, v26, v1
	v_add_f32_e32 v1, v27, v3
	v_mov_b32_e32 v53, v25
	v_add_f32_e32 v24, v26, v1
	v_pk_add_f32 v[26:27], v[54:55], v[68:69]
	v_mov_b32_e32 v34, v5
	v_pk_add_f32 v[26:27], v[26:27], v[52:53]
	v_mov_b32_e32 v35, v0
	v_add_f32_e32 v1, v25, v0
	v_mov_b32_e32 v40, v9
	v_mov_b32_e32 v41, v2
	;; [unrolled: 1-line block ×5, first 2 shown]
	v_pk_add_f32 v[26:27], v[26:27], v[34:35]
	v_mov_b32_e32 v34, v4
	v_mov_b32_e32 v35, v2
	v_fma_f32 v3, -0.5, v1, v21
	v_pk_add_f32 v[0:1], v[40:41], v[42:43] neg_lo:[0,1] neg_hi:[0,1]
	v_pk_add_f32 v[26:27], v[26:27], v[34:35]
	v_pk_add_f32 v[34:35], v[52:53], v[20:21] neg_lo:[0,1] neg_hi:[0,1]
	v_mov_b32_e32 v20, v1
	v_pk_add_f32 v[0:1], v[0:1], v[20:21]
	v_pk_add_f32 v[4:5], v[68:69], v[4:5] neg_lo:[0,1] neg_hi:[0,1]
	v_mov_b32_e32 v1, v34
	v_fmamk_f32 v5, v4, 0x3f737871, v3
	v_pk_mul_f32 v[0:1], v[0:1], s[8:9]
	v_fmac_f32_e32 v3, 0xbf737871, v4
	v_add_f32_e32 v5, v1, v5
	v_sub_f32_e32 v1, v3, v1
	v_add_f32_e32 v20, v0, v5
	v_add_f32_e32 v0, v0, v1
	;; [unrolled: 1-line block ×3, first 2 shown]
	v_pk_add_f32 v[2:3], v[42:43], v[40:41] neg_lo:[0,1] neg_hi:[0,1]
	v_fmac_f32_e32 v21, -0.5, v1
	v_mov_b32_e32 v36, v3
	v_pk_add_f32 v[2:3], v[2:3], v[36:37]
	v_fmamk_f32 v1, v34, 0xbf737871, v21
	v_mov_b32_e32 v3, v4
	v_pk_mul_f32 v[2:3], v[2:3], s[8:9]
	v_fmac_f32_e32 v21, 0x3f737871, v34
	v_add_f32_e32 v1, v3, v1
	v_add_f32_e32 v4, v2, v1
	v_sub_f32_e32 v1, v21, v3
	v_mov_b32_e32 v49, v23
	v_add_f32_e32 v2, v2, v1
	v_mov_b32_e32 v31, v7
	v_pk_add_f32 v[38:39], v[28:29], v[48:49]
	v_pk_mul_f32 v[2:3], v[2:3], s[20:21] op_sel_hi:[0,1]
	v_pk_add_f32 v[38:39], v[38:39], v[32:33]
	v_pk_add_f32 v[44:45], v[48:49], v[30:31]
	v_mov_b32_e32 v40, v23
	v_mov_b32_e32 v41, v48
	;; [unrolled: 1-line block ×4, first 2 shown]
	v_pk_fma_f32 v[2:3], v[24:25], s[16:17], v[2:3] op_sel_hi:[0,1,1] neg_lo:[0,0,1] neg_hi:[0,0,1]
	v_pk_add_f32 v[24:25], v[32:33], v[10:11]
	v_pk_add_f32 v[38:39], v[38:39], v[10:11]
	v_pk_add_f32 v[40:41], v[40:41], v[42:43] neg_lo:[0,1] neg_hi:[0,1]
	v_pk_fma_f32 v[42:43], v[44:45], 0.5, v[28:29] op_sel_hi:[1,0,1] neg_lo:[1,0,0] neg_hi:[1,0,0]
	v_pk_add_f32 v[44:45], v[32:33], v[48:49] neg_lo:[0,1] neg_hi:[0,1]
	v_pk_add_f32 v[46:47], v[10:11], v[30:31] neg_lo:[0,1] neg_hi:[0,1]
	v_pk_fma_f32 v[24:25], v[24:25], 0.5, v[28:29] op_sel_hi:[1,0,1] neg_lo:[1,0,0] neg_hi:[1,0,0]
	v_pk_add_f32 v[28:29], v[32:33], v[10:11] neg_lo:[0,1] neg_hi:[0,1]
	v_pk_mul_f32 v[20:21], v[20:21], s[30:31] op_sel_hi:[0,1]
	s_mov_b32 s16, s17
	v_pk_add_f32 v[38:39], v[38:39], v[30:31]
	v_pk_add_f32 v[44:45], v[44:45], v[46:47]
	v_pk_mul_f32 v[46:47], v[28:29], s[18:19] op_sel_hi:[1,0]
	v_pk_add_f32 v[10:11], v[30:31], v[10:11] neg_lo:[0,1] neg_hi:[0,1]
	v_pk_fma_f32 v[30:31], v[6:7], s[22:23], v[20:21] neg_lo:[0,0,1] neg_hi:[0,0,1]
	v_pk_fma_f32 v[6:7], v[6:7], s[22:23], v[20:21] op_sel_hi:[0,1,1]
	v_pk_fma_f32 v[20:21], v[40:41], s[16:17], v[24:25] op_sel_hi:[1,0,1] neg_lo:[1,0,0] neg_hi:[1,0,0]
	v_pk_fma_f32 v[24:25], v[40:41], s[16:17], v[24:25] op_sel_hi:[1,0,1]
	v_pk_add_f32 v[32:33], v[48:49], v[32:33] neg_lo:[0,1] neg_hi:[0,1]
	v_mov_b32_e32 v31, v7
	v_pk_mul_f32 v[6:7], v[28:29], s[16:17] op_sel_hi:[1,0]
	v_pk_add_f32 v[24:25], v[24:25], v[46:47] op_sel:[0,1] op_sel_hi:[1,0]
	v_pk_add_f32 v[28:29], v[20:21], v[46:47] op_sel:[0,1] op_sel_hi:[1,0] neg_lo:[0,1] neg_hi:[0,1]
	v_pk_add_f32 v[10:11], v[32:33], v[10:11]
	v_mov_b32_e32 v20, v28
	v_mov_b32_e32 v21, v25
	v_pk_fma_f32 v[32:33], v[10:11], s[8:9], v[20:21] op_sel_hi:[1,0,1]
	v_pk_add_f32 v[20:21], v[42:43], v[6:7] op_sel:[0,1] op_sel_hi:[1,0] neg_lo:[0,1] neg_hi:[0,1]
	v_pk_add_f32 v[6:7], v[42:43], v[6:7] op_sel:[0,1] op_sel_hi:[1,0]
	v_pk_add_f32 v[34:35], v[38:39], v[26:27]
	v_pk_fma_f32 v[6:7], v[40:41], s[18:19], v[6:7] op_sel_hi:[1,0,1] neg_lo:[1,0,0] neg_hi:[1,0,0]
	v_pk_fma_f32 v[40:41], v[40:41], s[18:19], v[20:21] op_sel_hi:[1,0,1]
	v_pk_add_f32 v[46:47], v[32:33], v[30:31]
	s_mov_b32 s16, s8
	v_pk_mul_f32 v[4:5], v[4:5], s[20:21] op_sel_hi:[0,1]
	v_mov_b32_e32 v20, v40
	v_mov_b32_e32 v21, v7
	ds_write2_b64 v70, v[34:35], v[46:47] offset1:48
	v_pk_fma_f32 v[34:35], v[22:23], s[16:17], v[4:5] neg_lo:[0,0,1] neg_hi:[0,0,1]
	v_pk_fma_f32 v[4:5], v[22:23], s[16:17], v[4:5] op_sel_hi:[0,1,1]
	v_mov_b32_e32 v7, v41
	v_pk_fma_f32 v[42:43], v[44:45], s[8:9], v[20:21] op_sel_hi:[1,0,1]
	v_mov_b32_e32 v35, v5
	v_pk_fma_f32 v[4:5], v[44:45], s[8:9], v[6:7] op_sel_hi:[1,0,1]
	v_pk_add_f32 v[20:21], v[42:43], v[2:3] neg_lo:[0,1] neg_hi:[0,1]
	v_pk_add_f32 v[6:7], v[4:5], v[34:35]
	v_pk_add_f32 v[2:3], v[42:43], v[2:3]
	s_mov_b32 s16, 0xbf4f1bbd
	s_mov_b32 s17, s9
	v_pk_mul_f32 v[0:1], v[0:1], s[30:31] op_sel_hi:[0,1]
	v_mov_b32_e32 v25, v29
	ds_write2_b64 v70, v[6:7], v[2:3] offset0:96 offset1:144
	v_pk_fma_f32 v[0:1], v[8:9], s[16:17], v[0:1] op_sel_hi:[0,1,1] neg_lo:[0,0,1] neg_hi:[0,0,1]
	v_pk_fma_f32 v[2:3], v[10:11], s[8:9], v[24:25] op_sel_hi:[1,0,1]
	v_pk_add_f32 v[8:9], v[38:39], v[26:27] neg_lo:[0,1] neg_hi:[0,1]
	v_pk_add_f32 v[6:7], v[2:3], v[0:1]
	ds_write2_b64 v70, v[6:7], v[8:9] offset0:192 offset1:240
	v_pk_add_f32 v[6:7], v[32:33], v[30:31] neg_lo:[0,1] neg_hi:[0,1]
	v_pk_add_f32 v[4:5], v[4:5], v[34:35] neg_lo:[0,1] neg_hi:[0,1]
	v_add_u32_e32 v8, 0x800, v70
	v_pk_add_f32 v[22:23], v[2:3], v[0:1] neg_lo:[0,1] neg_hi:[0,1]
	v_add_u32_e32 v0, 0x100, v13
	ds_write2_b64 v8, v[6:7], v[4:5] offset0:32 offset1:80
	ds_write2_b64 v8, v[20:21], v[22:23] offset0:128 offset1:176
	s_waitcnt lgkmcnt(0)
	s_barrier
	ds_read2st64_b64 v[8:11], v0 offset0:7 offset1:10
	ds_read2st64_b64 v[4:7], v13 offset0:15 offset1:18
	;; [unrolled: 1-line block ×3, first 2 shown]
	ds_read_b64 v[26:27], v13
	ds_read_b64 v[24:25], v67
	s_and_saveexec_b64 s[8:9], vcc
	s_xor_b64 s[8:9], exec, s[8:9]
; %bb.27:
                                        ; implicit-def: $vgpr13
; %bb.28:
	s_andn2_saveexec_b64 s[8:9], s[8:9]
	s_cbranch_execz .LBB0_30
; %bb.29:
	ds_read_b64 v[18:19], v13 offset:10752
	ds_read_b64 v[28:29], v13 offset:14592
	v_add_u32_e32 v16, 0xc00, v13
	ds_read_b64 v[20:21], v16
	ds_read_b64 v[22:23], v13 offset:6912
	s_waitcnt lgkmcnt(3)
	v_mov_b32_e32 v17, v19
	s_waitcnt lgkmcnt(2)
	v_mov_b32_e32 v16, v28
	v_mov_b32_e32 v19, v29
.LBB0_30:
	s_or_b64 exec, exec, s[8:9]
	v_mul_lo_u32 v28, v14, v37
	v_mov_b32_e32 v39, 3
	v_lshlrev_b32_sdwa v29, v39, v28 dst_sel:DWORD dst_unused:UNUSED_PAD src0_sel:DWORD src1_sel:BYTE_0
	v_mul_u32_u24_e32 v13, 3, v37
	v_lshlrev_b32_sdwa v34, v39, v28 dst_sel:DWORD dst_unused:UNUSED_PAD src0_sel:DWORD src1_sel:BYTE_1
	global_load_dwordx2 v[30:31], v29, s[12:13]
	global_load_dwordx2 v[32:33], v34, s[12:13] offset:2048
	v_mul_lo_u32 v29, v14, v64
	v_lshlrev_b32_e32 v13, 3, v13
	v_lshlrev_b32_sdwa v38, v39, v29 dst_sel:DWORD dst_unused:UNUSED_PAD src0_sel:DWORD src1_sel:BYTE_1
	global_load_dwordx4 v[40:43], v13, s[26:27] offset:288
	v_lshlrev_b32_sdwa v36, v39, v29 dst_sel:DWORD dst_unused:UNUSED_PAD src0_sel:DWORD src1_sel:BYTE_0
	global_load_dwordx2 v[34:35], v38, s[12:13] offset:2048
	global_load_dwordx2 v[44:45], v36, s[12:13]
	global_load_dwordx2 v[46:47], v13, s[26:27] offset:304
	v_add_u32_e32 v13, 0x50, v37
	v_mul_lo_u32 v36, v14, v13
	v_mov_b32_e32 v58, 0x1000
	v_bfe_u32 v28, v28, 16, 8
	v_lshlrev_b32_sdwa v38, v39, v36 dst_sel:DWORD dst_unused:UNUSED_PAD src0_sel:DWORD src1_sel:BYTE_0
	v_lshlrev_b32_sdwa v52, v39, v36 dst_sel:DWORD dst_unused:UNUSED_PAD src0_sel:DWORD src1_sel:BYTE_1
	v_lshl_or_b32 v28, v28, 3, v58
	global_load_dwordx2 v[48:49], v38, s[12:13]
	global_load_dwordx2 v[50:51], v52, s[12:13] offset:2048
	v_add_u32_e32 v67, 0x78, v37
	global_load_dwordx2 v[52:53], v28, s[12:13]
	v_bfe_u32 v28, v29, 16, 8
	v_lshl_or_b32 v28, v28, 3, v58
	v_bfe_u32 v29, v36, 16, 8
	global_load_dwordx2 v[54:55], v28, s[12:13]
	v_lshl_or_b32 v28, v29, 3, v58
	global_load_dwordx2 v[56:57], v28, s[12:13]
	v_mul_lo_u32 v28, v14, v67
	v_lshlrev_b32_sdwa v29, v39, v28 dst_sel:DWORD dst_unused:UNUSED_PAD src0_sel:DWORD src1_sel:BYTE_0
	v_lshlrev_b32_sdwa v36, v39, v28 dst_sel:DWORD dst_unused:UNUSED_PAD src0_sel:DWORD src1_sel:BYTE_1
	global_load_dwordx2 v[60:61], v29, s[12:13]
	global_load_dwordx2 v[62:63], v36, s[12:13] offset:2048
	s_movk_i32 s8, 0xcd
	v_mul_lo_u16_sdwa v29, v65, s8 dst_sel:DWORD dst_unused:UNUSED_PAD src0_sel:BYTE_0 src1_sel:DWORD
	v_lshrrev_b16_e32 v66, 13, v29
	v_bfe_u32 v28, v28, 16, 8
	v_mul_lo_u16_e32 v29, 40, v66
	v_lshl_or_b32 v28, v28, 3, v58
	v_sub_u16_e32 v36, v65, v29
	global_load_dwordx2 v[28:29], v28, s[12:13]
	v_and_b32_e32 v36, 0xff, v36
	v_mul_lo_u32 v38, v14, v36
	v_add_u32_e32 v59, 40, v36
	v_lshlrev_b32_sdwa v72, v39, v38 dst_sel:DWORD dst_unused:UNUSED_PAD src0_sel:DWORD src1_sel:BYTE_0
	v_lshlrev_b32_sdwa v73, v39, v38 dst_sel:DWORD dst_unused:UNUSED_PAD src0_sel:DWORD src1_sel:BYTE_1
	v_bfe_u32 v38, v38, 16, 8
	v_mul_lo_u32 v59, v14, v59
	v_lshl_or_b32 v38, v38, 3, v58
	v_lshlrev_b32_sdwa v74, v39, v59 dst_sel:DWORD dst_unused:UNUSED_PAD src0_sel:DWORD src1_sel:BYTE_0
	s_mul_i32 s8, s15, s28
	s_mul_hi_u32 s9, s14, s28
	s_add_i32 s9, s9, s8
	s_mul_i32 s8, s14, s28
	s_add_u32 s8, s8, s50
	s_addc_u32 s9, s9, s33
	s_andn2_b64 vcc, exec, s[0:1]
	s_waitcnt vmcnt(12)
	v_mul_f32_e32 v75, v31, v33
	v_mul_f32_e32 v76, v30, v33
	v_fma_f32 v75, v30, v32, -v75
	v_fmac_f32_e32 v76, v31, v32
	s_waitcnt vmcnt(11) lgkmcnt(4)
	v_pk_mul_f32 v[68:69], v[40:41], v[8:9] op_sel:[0,1]
	s_waitcnt lgkmcnt(3)
	v_pk_mul_f32 v[70:71], v[42:43], v[4:5] op_sel:[0,1]
	v_pk_fma_f32 v[30:31], v[40:41], v[8:9], v[68:69] op_sel:[0,0,1] op_sel_hi:[1,1,0]
	v_pk_fma_f32 v[8:9], v[40:41], v[8:9], v[68:69] op_sel:[0,0,1] op_sel_hi:[1,0,0] neg_lo:[1,0,0] neg_hi:[1,0,0]
	v_pk_fma_f32 v[32:33], v[42:43], v[4:5], v[70:71] op_sel:[0,0,1] op_sel_hi:[1,1,0]
	v_pk_fma_f32 v[4:5], v[42:43], v[4:5], v[70:71] op_sel:[0,0,1] op_sel_hi:[1,0,0] neg_lo:[1,0,0] neg_hi:[1,0,0]
	s_waitcnt vmcnt(9)
	v_mul_f32_e32 v8, v45, v35
	v_mul_f32_e32 v42, v44, v35
	v_fma_f32 v8, v44, v34, -v8
	v_fmac_f32_e32 v42, v45, v34
	s_waitcnt vmcnt(8) lgkmcnt(2)
	v_pk_mul_f32 v[34:35], v[46:47], v[0:1] op_sel:[0,1]
	s_waitcnt vmcnt(6)
	v_mul_f32_e32 v31, v48, v50
	v_pk_fma_f32 v[40:41], v[46:47], v[0:1], v[34:35] op_sel:[0,0,1] op_sel_hi:[1,1,0]
	v_pk_fma_f32 v[0:1], v[46:47], v[0:1], v[34:35] op_sel:[0,0,1] op_sel_hi:[1,0,0] neg_lo:[1,0,0] neg_hi:[1,0,0]
	v_pk_mul_f32 v[34:35], v[48:49], v[50:51] op_sel:[1,0] op_sel_hi:[0,1]
	v_lshlrev_b32_sdwa v4, v39, v59 dst_sel:DWORD dst_unused:UNUSED_PAD src0_sel:DWORD src1_sel:BYTE_1
	v_fma_f32 v41, -v49, v51, v31
	global_load_dwordx2 v[44:45], v72, s[12:13]
	global_load_dwordx2 v[46:47], v73, s[12:13] offset:2048
	global_load_dwordx2 v[48:49], v38, s[12:13]
	global_load_dwordx2 v[50:51], v74, s[12:13]
	v_mov_b32_e32 v33, v5
	s_waitcnt vmcnt(9)
	v_mul_f32_e32 v0, v76, v53
	v_add_f32_e32 v5, v34, v35
	v_fma_f32 v38, v52, v75, -v0
	global_load_dwordx2 v[34:35], v4, s[12:13] offset:2048
	s_waitcnt vmcnt(9)
	v_mul_f32_e32 v0, v42, v55
	s_waitcnt vmcnt(8)
	v_mul_f32_e32 v4, v5, v57
	v_mov_b32_e32 v31, v9
	v_mul_f32_e32 v68, v8, v55
	v_fma_f32 v69, v54, v8, -v0
	v_mul_f32_e32 v0, v41, v57
	v_fma_f32 v8, v56, v41, -v4
	v_mov_b32_e32 v41, v1
	s_waitcnt lgkmcnt(1)
	v_pk_add_f32 v[32:33], v[26:27], v[32:33] neg_lo:[0,1] neg_hi:[0,1]
	v_fmac_f32_e32 v0, v56, v5
	v_pk_fma_f32 v[4:5], v[26:27], 2.0, v[32:33] op_sel_hi:[1,0,1] neg_lo:[0,0,1] neg_hi:[0,0,1]
	v_pk_add_f32 v[26:27], v[30:31], v[40:41] neg_lo:[0,1] neg_hi:[0,1]
	v_bfe_u32 v1, v59, 16, 8
	v_pk_fma_f32 v[30:31], v[30:31], 2.0, v[26:27] op_sel_hi:[1,0,1] neg_lo:[0,0,1] neg_hi:[0,0,1]
	v_mul_f32_e32 v9, v75, v53
	v_pk_add_f32 v[30:31], v[4:5], v[30:31] neg_lo:[0,1] neg_hi:[0,1]
	v_lshl_or_b32 v1, v1, 3, v58
	v_fma_f32 v72, v4, 2.0, -v30
	v_add_u32_e32 v4, 0x50, v36
	v_mul_lo_u32 v40, v14, v4
	v_fmac_f32_e32 v9, v52, v76
	global_load_dwordx2 v[52:53], v1, s[12:13]
	v_lshlrev_b32_sdwa v1, v39, v40 dst_sel:DWORD dst_unused:UNUSED_PAD src0_sel:DWORD src1_sel:BYTE_0
	v_fmac_f32_e32 v68, v54, v42
	v_lshlrev_b32_sdwa v4, v39, v40 dst_sel:DWORD dst_unused:UNUSED_PAD src0_sel:DWORD src1_sel:BYTE_1
	global_load_dwordx2 v[54:55], v1, s[12:13]
	global_load_dwordx2 v[56:57], v4, s[12:13] offset:2048
	v_mul_u32_u24_e32 v1, 3, v36
	v_lshlrev_b32_e32 v59, 3, v1
	v_pk_mul_f32 v[0:1], v[30:31], v[0:1] op_sel_hi:[1,0]
	v_fma_f32 v73, v5, 2.0, -v31
	v_pk_fma_f32 v[4:5], v[30:31], v[8:9], v[0:1] op_sel:[0,0,1] op_sel_hi:[1,1,0]
	v_pk_fma_f32 v[30:31], v[30:31], v[8:9], v[0:1] op_sel:[0,0,1] op_sel_hi:[1,0,0] neg_lo:[0,0,1] neg_hi:[0,0,1]
	v_bfe_u32 v1, v40, 16, 8
	v_lshl_or_b32 v1, v1, 3, v58
	global_load_dwordx2 v[70:71], v1, s[12:13]
	global_load_dwordx4 v[40:43], v59, s[26:27] offset:288
	s_waitcnt vmcnt(11)
	v_mul_f32_e32 v0, v61, v63
	v_fma_f32 v5, v60, v62, -v0
	global_load_dwordx2 v[0:1], v59, s[26:27] offset:304
	v_mul_f32_e32 v30, v60, v63
	v_add_f32_e32 v60, v32, v27
	v_fmac_f32_e32 v30, v61, v62
	v_sub_f32_e32 v61, v33, v26
	v_fma_f32 v32, v32, 2.0, -v60
	v_fma_f32 v33, v33, 2.0, -v61
	v_mul_f32_e32 v26, v73, v9
	v_mul_f32_e32 v8, v72, v9
	;; [unrolled: 1-line block ×3, first 2 shown]
	v_fma_f32 v27, v73, v38, -v8
	v_mul_f32_e32 v8, v33, v68
	v_fma_f32 v9, v33, v69, -v9
	s_waitcnt vmcnt(11)
	v_mul_f32_e32 v33, v30, v29
	v_mul_f32_e32 v29, v5, v29
	v_fma_f32 v33, v28, v5, -v33
	v_fmac_f32_e32 v29, v28, v30
	v_fmac_f32_e32 v8, v32, v69
	v_or_b32_e32 v68, 32, v37
	v_fmac_f32_e32 v26, v72, v38
	s_waitcnt vmcnt(9)
	v_mul_f32_e32 v28, v44, v47
	v_mul_f32_e32 v5, v45, v47
	v_fmac_f32_e32 v28, v45, v46
	v_fma_f32 v5, v44, v46, -v5
	s_waitcnt vmcnt(8)
	v_mul_f32_e32 v30, v28, v49
	v_fma_f32 v59, v48, v5, -v30
	v_mul_f32_e32 v49, v5, v49
	s_waitcnt vmcnt(6)
	v_mul_f32_e32 v5, v51, v35
	v_fma_f32 v30, v50, v34, -v5
	v_mul_f32_e32 v32, v50, v35
	v_add_u32_e32 v5, 0x78, v36
	v_fmac_f32_e32 v32, v51, v34
	v_mul_lo_u32 v34, v14, v5
	v_mov_b32_e32 v5, v31
	v_mul_lo_u16_e32 v31, 13, v68
	v_lshrrev_b16_e32 v31, 9, v31
	v_mul_lo_u16_e32 v31, 40, v31
	v_fmac_f32_e32 v49, v48, v28
	v_mul_f32_e32 v28, v61, v29
	v_mul_f32_e32 v29, v60, v29
	v_sub_u16_e32 v31, v68, v31
	v_fma_f32 v29, v61, v33, -v29
	v_and_b32_e32 v61, 0xff, v31
	v_mul_u32_u24_e32 v31, 3, v61
	v_lshlrev_b32_e32 v69, 3, v31
	v_lshlrev_b32_sdwa v36, v39, v34 dst_sel:DWORD dst_unused:UNUSED_PAD src0_sel:DWORD src1_sel:BYTE_0
	v_lshlrev_b32_sdwa v38, v39, v34 dst_sel:DWORD dst_unused:UNUSED_PAD src0_sel:DWORD src1_sel:BYTE_1
	v_fmac_f32_e32 v28, v60, v33
	s_waitcnt vmcnt(5)
	v_mul_f32_e32 v31, v32, v53
	v_fma_f32 v72, v52, v30, -v31
	v_mul_f32_e32 v48, v30, v53
	v_fmac_f32_e32 v48, v52, v32
	s_waitcnt vmcnt(3)
	v_mul_f32_e32 v30, v54, v56
	v_fma_f32 v44, -v55, v57, v30
	v_pk_mul_f32 v[30:31], v[54:55], v[56:57] op_sel:[1,0] op_sel_hi:[0,1]
	v_add_f32_e32 v45, v30, v31
	v_bfe_u32 v30, v34, 16, 8
	v_lshl_or_b32 v46, v30, 3, v58
	global_load_dwordx2 v[32:33], v36, s[12:13]
	global_load_dwordx2 v[34:35], v38, s[12:13] offset:2048
	global_load_dwordx2 v[30:31], v46, s[12:13]
	s_waitcnt vmcnt(5)
	v_mul_f32_e32 v36, v45, v71
	v_mul_f32_e32 v38, v44, v71
	v_fma_f32 v36, v70, v44, -v36
	v_fmac_f32_e32 v38, v70, v45
	s_waitcnt vmcnt(4)
	v_pk_mul_f32 v[44:45], v[40:41], v[10:11] op_sel:[0,1]
	s_nop 0
	v_pk_fma_f32 v[46:47], v[40:41], v[10:11], v[44:45] op_sel:[0,0,1] op_sel_hi:[1,1,0]
	v_pk_fma_f32 v[10:11], v[40:41], v[10:11], v[44:45] op_sel:[0,0,1] op_sel_hi:[1,0,0] neg_lo:[1,0,0] neg_hi:[1,0,0]
	s_nop 0
	v_mov_b32_e32 v47, v11
	v_pk_mul_f32 v[10:11], v[42:43], v[6:7] op_sel:[0,1]
	s_nop 0
	v_pk_fma_f32 v[40:41], v[42:43], v[6:7], v[10:11] op_sel:[0,0,1] op_sel_hi:[1,1,0]
	v_pk_fma_f32 v[6:7], v[42:43], v[6:7], v[10:11] op_sel:[0,0,1] op_sel_hi:[1,0,0] neg_lo:[1,0,0] neg_hi:[1,0,0]
	s_nop 0
	v_mov_b32_e32 v41, v7
	s_waitcnt vmcnt(3)
	v_pk_mul_f32 v[6:7], v[0:1], v[2:3] op_sel:[0,1]
	s_nop 0
	v_pk_fma_f32 v[10:11], v[0:1], v[2:3], v[6:7] op_sel:[0,0,1] op_sel_hi:[1,1,0]
	v_pk_fma_f32 v[0:1], v[0:1], v[2:3], v[6:7] op_sel:[0,0,1] op_sel_hi:[1,0,0] neg_lo:[1,0,0] neg_hi:[1,0,0]
	s_nop 0
	v_mov_b32_e32 v11, v1
	s_waitcnt lgkmcnt(0)
	v_pk_add_f32 v[0:1], v[24:25], v[40:41] neg_lo:[0,1] neg_hi:[0,1]
	v_pk_add_f32 v[6:7], v[46:47], v[10:11] neg_lo:[0,1] neg_hi:[0,1]
	v_pk_fma_f32 v[2:3], v[24:25], 2.0, v[0:1] op_sel_hi:[1,0,1] neg_lo:[0,0,1] neg_hi:[0,0,1]
	v_pk_fma_f32 v[10:11], v[46:47], 2.0, v[6:7] op_sel_hi:[1,0,1] neg_lo:[0,0,1] neg_hi:[0,0,1]
	v_sub_f32_e32 v75, v1, v6
	v_pk_add_f32 v[70:71], v[2:3], v[10:11] neg_lo:[0,1] neg_hi:[0,1]
	v_add_f32_e32 v74, v0, v7
	v_fma_f32 v2, v2, 2.0, -v70
	v_fma_f32 v73, v1, 2.0, -v75
	;; [unrolled: 1-line block ×4, first 2 shown]
	v_mul_f32_e32 v1, v2, v49
	v_mul_f32_e32 v60, v73, v48
	;; [unrolled: 1-line block ×3, first 2 shown]
	v_fma_f32 v63, v3, v59, -v1
	v_fmac_f32_e32 v60, v0, v72
	v_mul_f32_e32 v76, v0, v48
	v_mul_lo_u32 v0, v14, v61
	v_add_u32_e32 v3, 40, v61
	v_fmac_f32_e32 v62, v2, v59
	v_lshlrev_b32_sdwa v1, v39, v0 dst_sel:DWORD dst_unused:UNUSED_PAD src0_sel:DWORD src1_sel:BYTE_0
	v_lshlrev_b32_sdwa v2, v39, v0 dst_sel:DWORD dst_unused:UNUSED_PAD src0_sel:DWORD src1_sel:BYTE_1
	v_bfe_u32 v0, v0, 16, 8
	v_mul_lo_u32 v3, v14, v3
	v_lshl_or_b32 v0, v0, 3, v58
	v_lshlrev_b32_sdwa v6, v39, v3 dst_sel:DWORD dst_unused:UNUSED_PAD src0_sel:DWORD src1_sel:BYTE_0
	global_load_dwordx2 v[46:47], v1, s[12:13]
	global_load_dwordx2 v[48:49], v2, s[12:13] offset:2048
	global_load_dwordx2 v[44:45], v0, s[12:13]
	global_load_dwordx2 v[42:43], v6, s[12:13]
	v_add_u32_e32 v2, 0x50, v61
	v_mul_lo_u32 v2, v14, v2
	v_lshlrev_b32_sdwa v0, v39, v3 dst_sel:DWORD dst_unused:UNUSED_PAD src0_sel:DWORD src1_sel:BYTE_1
	v_bfe_u32 v1, v3, 16, 8
	v_lshlrev_b32_sdwa v6, v39, v2 dst_sel:DWORD dst_unused:UNUSED_PAD src0_sel:DWORD src1_sel:BYTE_1
	v_lshl_or_b32 v1, v1, 3, v58
	v_lshlrev_b32_sdwa v3, v39, v2 dst_sel:DWORD dst_unused:UNUSED_PAD src0_sel:DWORD src1_sel:BYTE_0
	global_load_dwordx2 v[56:57], v0, s[12:13] offset:2048
	global_load_dwordx2 v[54:55], v1, s[12:13]
	global_load_dwordx2 v[50:51], v3, s[12:13]
	global_load_dwordx2 v[52:53], v6, s[12:13] offset:2048
	v_add_u32_e32 v6, 0x78, v61
	v_bfe_u32 v0, v2, 16, 8
	v_mul_lo_u32 v6, v14, v6
	v_lshl_or_b32 v77, v0, 3, v58
	v_lshlrev_b32_sdwa v61, v39, v6 dst_sel:DWORD dst_unused:UNUSED_PAD src0_sel:DWORD src1_sel:BYTE_0
	v_lshlrev_b32_sdwa v39, v39, v6 dst_sel:DWORD dst_unused:UNUSED_PAD src0_sel:DWORD src1_sel:BYTE_1
	v_bfe_u32 v6, v6, 16, 8
	global_load_dwordx2 v[40:41], v69, s[26:27] offset:304
	global_load_dwordx4 v[0:3], v69, s[26:27] offset:288
	v_lshl_or_b32 v69, v6, 3, v58
	global_load_dwordx2 v[58:59], v77, s[12:13]
	global_load_dwordx2 v[10:11], v61, s[12:13]
	global_load_dwordx2 v[24:25], v39, s[12:13] offset:2048
	global_load_dwordx2 v[6:7], v69, s[12:13]
	v_fma_f32 v61, v73, v72, -v76
	v_pk_mul_f32 v[72:73], v[70:71], v[38:39] op_sel_hi:[1,0]
	s_movk_i32 s12, 0x78
	v_pk_fma_f32 v[38:39], v[70:71], v[36:37], v[72:73] op_sel:[0,0,1] op_sel_hi:[1,1,0]
	v_pk_fma_f32 v[70:71], v[70:71], v[36:37], v[72:73] op_sel:[0,0,1] op_sel_hi:[1,0,0] neg_lo:[0,0,1] neg_hi:[0,0,1]
	s_waitcnt vmcnt(15)
	v_mul_f32_e32 v36, v33, v35
	v_fma_f32 v36, v32, v34, -v36
	v_mul_f32_e32 v32, v32, v35
	v_fmac_f32_e32 v32, v33, v34
	s_waitcnt vmcnt(14)
	v_mul_f32_e32 v33, v32, v31
	v_mul_f32_e32 v31, v36, v31
	v_fmac_f32_e32 v31, v30, v32
	v_fma_f32 v33, v30, v36, -v33
	v_mul_f32_e32 v32, v75, v31
	v_mul_f32_e32 v30, v74, v31
	v_mov_b32_e32 v39, v71
	v_fmac_f32_e32 v32, v74, v33
	v_fma_f32 v33, v75, v33, -v30
	s_cbranch_vccnz .LBB0_32
; %bb.31:
	v_mad_u64_u32 v[30:31], s[0:1], s6, v12, 0
	v_mov_b32_e32 v34, v31
	v_mad_u64_u32 v[34:35], s[0:1], s7, v12, v[34:35]
	v_mov_b32_e32 v31, v34
	;; [unrolled: 2-line block ×3, first 2 shown]
	v_mad_u64_u32 v[70:71], s[0:1], s5, v37, v[36:37]
	s_lshl_b64 s[0:1], s[8:9], 3
	s_add_u32 s0, s10, s0
	s_addc_u32 s1, s11, s1
	v_mov_b32_e32 v35, v70
	v_lshl_add_u64 v[30:31], v[30:31], 3, s[0:1]
	v_lshl_add_u64 v[34:35], v[34:35], 3, v[30:31]
	global_store_dwordx2 v[34:35], v[26:27], off
	v_mad_u64_u32 v[34:35], s[0:1], s4, v64, 0
	v_mov_b32_e32 v36, v35
	v_mad_u64_u32 v[70:71], s[0:1], s5, v64, v[36:37]
	v_mov_b32_e32 v35, v70
	v_lshl_add_u64 v[34:35], v[34:35], 3, v[30:31]
	global_store_dwordx2 v[34:35], v[8:9], off
	v_mad_u64_u32 v[34:35], s[0:1], s4, v13, 0
	v_mov_b32_e32 v36, v35
	v_mad_u64_u32 v[70:71], s[0:1], s5, v13, v[36:37]
	v_mov_b32_e32 v35, v70
	;; [unrolled: 6-line block ×3, first 2 shown]
	v_lshl_add_u64 v[34:35], v[34:35], 3, v[30:31]
	v_mad_u32_u24 v13, v66, s12, v65
	global_store_dwordx2 v[34:35], v[28:29], off
	v_mad_u64_u32 v[34:35], s[0:1], s4, v13, 0
	v_mov_b32_e32 v36, v35
	v_mad_u64_u32 v[70:71], s[0:1], s5, v13, v[36:37]
	v_mov_b32_e32 v35, v70
	v_lshl_add_u64 v[34:35], v[34:35], 3, v[30:31]
	v_add_u32_e32 v67, 40, v13
	global_store_dwordx2 v[34:35], v[62:63], off
	v_mad_u64_u32 v[34:35], s[0:1], s4, v67, 0
	v_mov_b32_e32 v36, v35
	v_mad_u64_u32 v[70:71], s[0:1], s5, v67, v[36:37]
	v_mov_b32_e32 v35, v70
	v_lshl_add_u64 v[34:35], v[34:35], 3, v[30:31]
	v_add_u32_e32 v67, 0x50, v13
	;; [unrolled: 7-line block ×3, first 2 shown]
	global_store_dwordx2 v[34:35], v[38:39], off
	v_mad_u64_u32 v[34:35], s[0:1], s4, v13, 0
	v_mov_b32_e32 v36, v35
	v_mad_u64_u32 v[70:71], s[0:1], s5, v13, v[36:37]
	v_mov_b32_e32 v35, v70
	v_lshl_add_u64 v[34:35], v[34:35], 3, v[30:31]
	s_and_b64 s[0:1], s[2:3], exec
	global_store_dwordx2 v[34:35], v[32:33], off
	s_cbranch_execz .LBB0_33
	s_branch .LBB0_36
.LBB0_32:
	s_mov_b64 s[0:1], 0
                                        ; implicit-def: $vgpr30_vgpr31
.LBB0_33:
	v_cmp_gt_u64_e32 vcc, s[24:25], v[14:15]
                                        ; implicit-def: $vgpr30_vgpr31
	s_and_saveexec_b64 s[12:13], vcc
	s_cbranch_execz .LBB0_35
; %bb.34:
	v_mad_u64_u32 v[14:15], s[14:15], s6, v12, 0
	v_mov_b32_e32 v30, v15
	v_mad_u64_u32 v[12:13], s[6:7], s7, v12, v[30:31]
	v_mov_b32_e32 v15, v12
	;; [unrolled: 2-line block ×3, first 2 shown]
	v_mad_u64_u32 v[30:31], s[6:7], s5, v37, v[30:31]
	s_lshl_b64 s[6:7], s[8:9], 3
	s_add_u32 s6, s10, s6
	s_addc_u32 s7, s11, s7
	v_mov_b32_e32 v13, v30
	v_lshl_add_u64 v[30:31], v[14:15], 3, s[6:7]
	v_lshl_add_u64 v[12:13], v[12:13], 3, v[30:31]
	global_store_dwordx2 v[12:13], v[26:27], off
	v_mad_u64_u32 v[12:13], s[6:7], s4, v64, 0
	v_mov_b32_e32 v14, v13
	v_mad_u64_u32 v[14:15], s[6:7], s5, v64, v[14:15]
	v_mov_b32_e32 v13, v14
	v_lshl_add_u64 v[12:13], v[12:13], 3, v[30:31]
	global_store_dwordx2 v[12:13], v[8:9], off
	v_add_u32_e32 v13, 0x50, v37
	v_mad_u64_u32 v[8:9], s[6:7], s4, v13, 0
	v_mov_b32_e32 v12, v9
	v_mad_u64_u32 v[12:13], s[6:7], s5, v13, v[12:13]
	v_mov_b32_e32 v9, v12
	v_lshl_add_u64 v[8:9], v[8:9], 3, v[30:31]
	global_store_dwordx2 v[8:9], v[4:5], off
	v_add_u32_e32 v9, 0x78, v37
	v_mad_u64_u32 v[4:5], s[6:7], s4, v9, 0
	v_mov_b32_e32 v8, v5
	v_mad_u64_u32 v[8:9], s[6:7], s5, v9, v[8:9]
	s_movk_i32 s8, 0x78
	v_mov_b32_e32 v5, v8
	v_lshl_add_u64 v[4:5], v[4:5], 3, v[30:31]
	v_mad_u32_u24 v12, v66, s8, v65
	global_store_dwordx2 v[4:5], v[28:29], off
	v_mad_u64_u32 v[4:5], s[6:7], s4, v12, 0
	v_mov_b32_e32 v8, v5
	v_mad_u64_u32 v[8:9], s[6:7], s5, v12, v[8:9]
	v_mov_b32_e32 v5, v8
	v_lshl_add_u64 v[4:5], v[4:5], 3, v[30:31]
	v_add_u32_e32 v9, 40, v12
	global_store_dwordx2 v[4:5], v[62:63], off
	v_mad_u64_u32 v[4:5], s[6:7], s4, v9, 0
	v_mov_b32_e32 v8, v5
	v_mad_u64_u32 v[8:9], s[6:7], s5, v9, v[8:9]
	v_mov_b32_e32 v5, v8
	v_lshl_add_u64 v[4:5], v[4:5], 3, v[30:31]
	v_add_u32_e32 v9, 0x50, v12
	;; [unrolled: 7-line block ×3, first 2 shown]
	global_store_dwordx2 v[4:5], v[38:39], off
	v_mad_u64_u32 v[4:5], s[6:7], s4, v9, 0
	v_mov_b32_e32 v8, v5
	v_mad_u64_u32 v[8:9], s[6:7], s5, v9, v[8:9]
	v_mov_b32_e32 v5, v8
	s_andn2_b64 s[0:1], s[0:1], exec
	s_and_b64 s[2:3], s[2:3], exec
	v_lshl_add_u64 v[4:5], v[4:5], 3, v[30:31]
	s_or_b64 s[0:1], s[0:1], s[2:3]
	global_store_dwordx2 v[4:5], v[32:33], off
.LBB0_35:
	s_or_b64 exec, exec, s[12:13]
.LBB0_36:
	s_and_saveexec_b64 s[2:3], s[0:1]
	s_cbranch_execnz .LBB0_38
; %bb.37:
	s_endpgm
.LBB0_38:
	s_waitcnt vmcnt(12)
	v_mul_f32_e32 v4, v47, v49
	v_mov_b32_e32 v12, v23
	v_fma_f32 v4, v46, v48, -v4
	v_mul_f32_e32 v5, v46, v49
	s_waitcnt vmcnt(4)
	v_pk_mul_f32 v[12:13], v[12:13], v[0:1] op_sel_hi:[0,1]
	v_fmac_f32_e32 v5, v47, v48
	v_mul_f32_e32 v26, v4, v45
	v_pk_fma_f32 v[14:15], v[22:23], v[0:1], v[12:13] op_sel:[0,0,1] op_sel_hi:[1,1,0]
	v_pk_fma_f32 v[0:1], v[22:23], v[0:1], v[12:13] op_sel:[0,0,1] op_sel_hi:[0,1,0] neg_lo:[1,0,0] neg_hi:[1,0,0]
	v_mul_f32_e32 v8, v5, v45
	v_fmac_f32_e32 v26, v44, v5
	v_mul_f32_e32 v5, v42, v57
	v_mov_b32_e32 v15, v1
	v_pk_mul_f32 v[0:1], v[16:17], v[2:3] op_sel:[1,0]
	v_fma_f32 v9, v44, v4, -v8
	v_mul_f32_e32 v4, v43, v57
	v_fmac_f32_e32 v5, v43, v56
	v_pk_fma_f32 v[12:13], v[18:19], v[2:3], v[0:1] op_sel:[0,0,1] op_sel_hi:[1,1,0]
	v_pk_fma_f32 v[0:1], v[18:19], v[2:3], v[0:1] op_sel:[0,0,1] op_sel_hi:[0,1,0] neg_lo:[1,0,0] neg_hi:[1,0,0]
	v_fma_f32 v4, v42, v56, -v4
	v_mul_f32_e32 v8, v5, v55
	v_mov_b32_e32 v13, v1
	v_pk_mul_f32 v[0:1], v[18:19], v[40:41] op_sel:[1,0]
	v_fma_f32 v27, v54, v4, -v8
	v_mul_f32_e32 v28, v4, v55
	v_mul_f32_e32 v4, v50, v52
	v_pk_fma_f32 v[2:3], v[16:17], v[40:41], v[0:1] op_sel:[0,0,1] op_sel_hi:[1,1,0]
	v_pk_fma_f32 v[0:1], v[16:17], v[40:41], v[0:1] op_sel:[0,0,1] op_sel_hi:[0,1,0] neg_lo:[1,0,0] neg_hi:[1,0,0]
	v_fmac_f32_e32 v28, v54, v5
	v_fma_f32 v8, -v51, v53, v4
	v_pk_mul_f32 v[4:5], v[50:51], v[52:53] op_sel:[1,0] op_sel_hi:[0,1]
	v_mov_b32_e32 v3, v1
	v_add_f32_e32 v5, v4, v5
	v_pk_add_f32 v[0:1], v[20:21], v[12:13] neg_lo:[0,1] neg_hi:[0,1]
	v_pk_add_f32 v[2:3], v[14:15], v[2:3] neg_lo:[0,1] neg_hi:[0,1]
	s_waitcnt vmcnt(3)
	v_mul_f32_e32 v4, v5, v59
	v_pk_fma_f32 v[12:13], v[20:21], 2.0, v[0:1] op_sel_hi:[1,0,1] neg_lo:[0,0,1] neg_hi:[0,0,1]
	v_pk_fma_f32 v[14:15], v[14:15], 2.0, v[2:3] op_sel_hi:[1,0,1] neg_lo:[0,0,1] neg_hi:[0,0,1]
	v_fma_f32 v4, v58, v8, -v4
	v_mul_f32_e32 v8, v8, v59
	v_pk_add_f32 v[14:15], v[12:13], v[14:15] neg_lo:[0,1] neg_hi:[0,1]
	v_sub_f32_e32 v17, v1, v2
	v_fmac_f32_e32 v8, v58, v5
	v_fma_f32 v5, v12, 2.0, -v14
	v_fma_f32 v12, v13, 2.0, -v15
	v_add_f32_e32 v16, v0, v3
	v_fma_f32 v13, v1, 2.0, -v17
	v_fma_f32 v3, v0, 2.0, -v16
	v_mul_f32_e32 v0, v12, v26
	v_mul_f32_e32 v1, v5, v26
	;; [unrolled: 1-line block ×3, first 2 shown]
	v_fmac_f32_e32 v0, v5, v9
	v_fma_f32 v1, v12, v9, -v1
	v_fmac_f32_e32 v2, v3, v27
	v_mul_f32_e32 v3, v3, v28
	v_pk_mul_f32 v[8:9], v[14:15], v[8:9] op_sel_hi:[1,0]
	v_fma_f32 v3, v13, v27, -v3
	v_pk_fma_f32 v[12:13], v[14:15], v[4:5], v[8:9] op_sel:[0,0,1] op_sel_hi:[1,1,0]
	v_pk_fma_f32 v[4:5], v[14:15], v[4:5], v[8:9] op_sel:[0,0,1] op_sel_hi:[1,0,0] neg_lo:[0,0,1] neg_hi:[0,0,1]
	s_waitcnt vmcnt(1)
	v_mul_f32_e32 v8, v10, v25
	v_mul_f32_e32 v4, v11, v25
	v_fmac_f32_e32 v8, v11, v24
	v_fma_f32 v4, v10, v24, -v4
	s_waitcnt vmcnt(0)
	v_mul_f32_e32 v9, v8, v7
	v_fma_f32 v9, v6, v4, -v9
	v_mul_f32_e32 v4, v4, v7
	v_fmac_f32_e32 v4, v6, v8
	v_mul_f32_e32 v6, v17, v4
	v_mul_f32_e32 v4, v16, v4
	v_fmac_f32_e32 v6, v16, v9
	v_fma_f32 v7, v17, v9, -v4
	v_mad_u64_u32 v[8:9], s[0:1], s4, v68, 0
	v_mov_b32_e32 v4, v9
	v_mad_u64_u32 v[10:11], s[0:1], s5, v68, v[4:5]
	v_mov_b32_e32 v9, v10
	v_lshl_add_u64 v[8:9], v[8:9], 3, v[30:31]
	global_store_dwordx2 v[8:9], v[0:1], off
	v_add_u32_e32 v8, 0x48, v37
	v_mad_u64_u32 v[0:1], s[0:1], s4, v8, 0
	v_mov_b32_e32 v4, v1
	v_mad_u64_u32 v[8:9], s[0:1], s5, v8, v[4:5]
	v_mov_b32_e32 v1, v8
	v_lshl_add_u64 v[0:1], v[0:1], 3, v[30:31]
	global_store_dwordx2 v[0:1], v[2:3], off
	v_or_b32_e32 v3, 0x70, v37
	v_mad_u64_u32 v[0:1], s[0:1], s4, v3, 0
	v_mov_b32_e32 v2, v1
	v_mad_u64_u32 v[2:3], s[0:1], s5, v3, v[2:3]
	v_mov_b32_e32 v1, v2
	v_lshl_add_u64 v[0:1], v[0:1], 3, v[30:31]
	v_mov_b32_e32 v13, v5
	v_add_u32_e32 v3, 0x98, v37
	global_store_dwordx2 v[0:1], v[12:13], off
	v_mad_u64_u32 v[0:1], s[0:1], s4, v3, 0
	v_mov_b32_e32 v2, v1
	v_mad_u64_u32 v[2:3], s[0:1], s5, v3, v[2:3]
	v_mov_b32_e32 v1, v2
	v_lshl_add_u64 v[0:1], v[0:1], 3, v[30:31]
	global_store_dwordx2 v[0:1], v[6:7], off
	s_endpgm
	.section	.rodata,"a",@progbits
	.p2align	6, 0x0
	.amdhsa_kernel fft_rtc_back_len160_factors_4_10_4_wgs_192_tpt_16_sp_op_CI_CI_sbcc_twdbase8_3step_dirReg
		.amdhsa_group_segment_fixed_size 0
		.amdhsa_private_segment_fixed_size 0
		.amdhsa_kernarg_size 112
		.amdhsa_user_sgpr_count 2
		.amdhsa_user_sgpr_dispatch_ptr 0
		.amdhsa_user_sgpr_queue_ptr 0
		.amdhsa_user_sgpr_kernarg_segment_ptr 1
		.amdhsa_user_sgpr_dispatch_id 0
		.amdhsa_user_sgpr_kernarg_preload_length 0
		.amdhsa_user_sgpr_kernarg_preload_offset 0
		.amdhsa_user_sgpr_private_segment_size 0
		.amdhsa_uses_dynamic_stack 0
		.amdhsa_enable_private_segment 0
		.amdhsa_system_sgpr_workgroup_id_x 1
		.amdhsa_system_sgpr_workgroup_id_y 0
		.amdhsa_system_sgpr_workgroup_id_z 0
		.amdhsa_system_sgpr_workgroup_info 0
		.amdhsa_system_vgpr_workitem_id 0
		.amdhsa_next_free_vgpr 78
		.amdhsa_next_free_sgpr 57
		.amdhsa_accum_offset 80
		.amdhsa_reserve_vcc 1
		.amdhsa_float_round_mode_32 0
		.amdhsa_float_round_mode_16_64 0
		.amdhsa_float_denorm_mode_32 3
		.amdhsa_float_denorm_mode_16_64 3
		.amdhsa_dx10_clamp 1
		.amdhsa_ieee_mode 1
		.amdhsa_fp16_overflow 0
		.amdhsa_tg_split 0
		.amdhsa_exception_fp_ieee_invalid_op 0
		.amdhsa_exception_fp_denorm_src 0
		.amdhsa_exception_fp_ieee_div_zero 0
		.amdhsa_exception_fp_ieee_overflow 0
		.amdhsa_exception_fp_ieee_underflow 0
		.amdhsa_exception_fp_ieee_inexact 0
		.amdhsa_exception_int_div_zero 0
	.end_amdhsa_kernel
	.text
.Lfunc_end0:
	.size	fft_rtc_back_len160_factors_4_10_4_wgs_192_tpt_16_sp_op_CI_CI_sbcc_twdbase8_3step_dirReg, .Lfunc_end0-fft_rtc_back_len160_factors_4_10_4_wgs_192_tpt_16_sp_op_CI_CI_sbcc_twdbase8_3step_dirReg
                                        ; -- End function
	.section	.AMDGPU.csdata,"",@progbits
; Kernel info:
; codeLenInByte = 8500
; NumSgprs: 63
; NumVgprs: 78
; NumAgprs: 0
; TotalNumVgprs: 78
; ScratchSize: 0
; MemoryBound: 0
; FloatMode: 240
; IeeeMode: 1
; LDSByteSize: 0 bytes/workgroup (compile time only)
; SGPRBlocks: 7
; VGPRBlocks: 9
; NumSGPRsForWavesPerEU: 63
; NumVGPRsForWavesPerEU: 78
; AccumOffset: 80
; Occupancy: 6
; WaveLimiterHint : 1
; COMPUTE_PGM_RSRC2:SCRATCH_EN: 0
; COMPUTE_PGM_RSRC2:USER_SGPR: 2
; COMPUTE_PGM_RSRC2:TRAP_HANDLER: 0
; COMPUTE_PGM_RSRC2:TGID_X_EN: 1
; COMPUTE_PGM_RSRC2:TGID_Y_EN: 0
; COMPUTE_PGM_RSRC2:TGID_Z_EN: 0
; COMPUTE_PGM_RSRC2:TIDIG_COMP_CNT: 0
; COMPUTE_PGM_RSRC3_GFX90A:ACCUM_OFFSET: 19
; COMPUTE_PGM_RSRC3_GFX90A:TG_SPLIT: 0
	.text
	.p2alignl 6, 3212836864
	.fill 256, 4, 3212836864
	.type	__hip_cuid_200ff3466c024464,@object ; @__hip_cuid_200ff3466c024464
	.section	.bss,"aw",@nobits
	.globl	__hip_cuid_200ff3466c024464
__hip_cuid_200ff3466c024464:
	.byte	0                               ; 0x0
	.size	__hip_cuid_200ff3466c024464, 1

	.ident	"AMD clang version 19.0.0git (https://github.com/RadeonOpenCompute/llvm-project roc-6.4.0 25133 c7fe45cf4b819c5991fe208aaa96edf142730f1d)"
	.section	".note.GNU-stack","",@progbits
	.addrsig
	.addrsig_sym __hip_cuid_200ff3466c024464
	.amdgpu_metadata
---
amdhsa.kernels:
  - .agpr_count:     0
    .args:
      - .actual_access:  read_only
        .address_space:  global
        .offset:         0
        .size:           8
        .value_kind:     global_buffer
      - .address_space:  global
        .offset:         8
        .size:           8
        .value_kind:     global_buffer
      - .offset:         16
        .size:           8
        .value_kind:     by_value
      - .actual_access:  read_only
        .address_space:  global
        .offset:         24
        .size:           8
        .value_kind:     global_buffer
      - .actual_access:  read_only
        .address_space:  global
        .offset:         32
        .size:           8
        .value_kind:     global_buffer
      - .actual_access:  read_only
        .address_space:  global
        .offset:         40
        .size:           8
        .value_kind:     global_buffer
      - .offset:         48
        .size:           8
        .value_kind:     by_value
      - .actual_access:  read_only
        .address_space:  global
        .offset:         56
        .size:           8
        .value_kind:     global_buffer
      - .actual_access:  read_only
        .address_space:  global
        .offset:         64
        .size:           8
        .value_kind:     global_buffer
      - .offset:         72
        .size:           4
        .value_kind:     by_value
      - .actual_access:  read_only
        .address_space:  global
        .offset:         80
        .size:           8
        .value_kind:     global_buffer
      - .actual_access:  read_only
        .address_space:  global
        .offset:         88
        .size:           8
        .value_kind:     global_buffer
      - .actual_access:  read_only
        .address_space:  global
        .offset:         96
        .size:           8
        .value_kind:     global_buffer
      - .actual_access:  write_only
        .address_space:  global
        .offset:         104
        .size:           8
        .value_kind:     global_buffer
    .group_segment_fixed_size: 0
    .kernarg_segment_align: 8
    .kernarg_segment_size: 112
    .language:       OpenCL C
    .language_version:
      - 2
      - 0
    .max_flat_workgroup_size: 192
    .name:           fft_rtc_back_len160_factors_4_10_4_wgs_192_tpt_16_sp_op_CI_CI_sbcc_twdbase8_3step_dirReg
    .private_segment_fixed_size: 0
    .sgpr_count:     63
    .sgpr_spill_count: 0
    .symbol:         fft_rtc_back_len160_factors_4_10_4_wgs_192_tpt_16_sp_op_CI_CI_sbcc_twdbase8_3step_dirReg.kd
    .uniform_work_group_size: 1
    .uses_dynamic_stack: false
    .vgpr_count:     78
    .vgpr_spill_count: 0
    .wavefront_size: 64
amdhsa.target:   amdgcn-amd-amdhsa--gfx950
amdhsa.version:
  - 1
  - 2
...

	.end_amdgpu_metadata
